;; amdgpu-corpus repo=ROCm/rocFFT kind=compiled arch=gfx1030 opt=O3
	.text
	.amdgcn_target "amdgcn-amd-amdhsa--gfx1030"
	.amdhsa_code_object_version 6
	.protected	fft_rtc_fwd_len1920_factors_10_6_16_2_wgs_240_tpt_120_halfLds_sp_op_CI_CI_sbrr_dirReg ; -- Begin function fft_rtc_fwd_len1920_factors_10_6_16_2_wgs_240_tpt_120_halfLds_sp_op_CI_CI_sbrr_dirReg
	.globl	fft_rtc_fwd_len1920_factors_10_6_16_2_wgs_240_tpt_120_halfLds_sp_op_CI_CI_sbrr_dirReg
	.p2align	8
	.type	fft_rtc_fwd_len1920_factors_10_6_16_2_wgs_240_tpt_120_halfLds_sp_op_CI_CI_sbrr_dirReg,@function
fft_rtc_fwd_len1920_factors_10_6_16_2_wgs_240_tpt_120_halfLds_sp_op_CI_CI_sbrr_dirReg: ; @fft_rtc_fwd_len1920_factors_10_6_16_2_wgs_240_tpt_120_halfLds_sp_op_CI_CI_sbrr_dirReg
; %bb.0:
	s_clause 0x2
	s_load_dwordx4 s[16:19], s[4:5], 0x18
	s_load_dwordx4 s[12:15], s[4:5], 0x0
	;; [unrolled: 1-line block ×3, first 2 shown]
	v_mul_u32_u24_e32 v1, 0x223, v0
	v_mov_b32_e32 v3, 0
	v_mov_b32_e32 v47, 0
	;; [unrolled: 1-line block ×3, first 2 shown]
	s_waitcnt lgkmcnt(0)
	s_load_dwordx2 s[20:21], s[16:17], 0x0
	s_load_dwordx2 s[2:3], s[18:19], 0x0
	v_lshrrev_b32_e32 v49, 16, v1
	v_cmp_lt_u64_e64 s0, s[14:15], 2
	v_mov_b32_e32 v8, v3
	v_lshl_add_u32 v7, s6, 1, v49
	s_and_b32 vcc_lo, exec_lo, s0
	s_cbranch_vccnz .LBB0_8
; %bb.1:
	s_load_dwordx2 s[0:1], s[4:5], 0x10
	v_mov_b32_e32 v47, 0
	v_mov_b32_e32 v48, 0
	s_add_u32 s6, s18, 8
	s_addc_u32 s7, s19, 0
	v_mov_b32_e32 v1, v47
	s_add_u32 s22, s16, 8
	v_mov_b32_e32 v2, v48
	s_addc_u32 s23, s17, 0
	s_mov_b64 s[26:27], 1
	s_waitcnt lgkmcnt(0)
	s_add_u32 s24, s0, 8
	s_addc_u32 s25, s1, 0
.LBB0_2:                                ; =>This Inner Loop Header: Depth=1
	s_load_dwordx2 s[28:29], s[24:25], 0x0
                                        ; implicit-def: $vgpr5_vgpr6
	s_mov_b32 s0, exec_lo
	s_waitcnt lgkmcnt(0)
	v_or_b32_e32 v4, s29, v8
	v_cmpx_ne_u64_e32 0, v[3:4]
	s_xor_b32 s1, exec_lo, s0
	s_cbranch_execz .LBB0_4
; %bb.3:                                ;   in Loop: Header=BB0_2 Depth=1
	v_cvt_f32_u32_e32 v4, s28
	v_cvt_f32_u32_e32 v5, s29
	s_sub_u32 s0, 0, s28
	s_subb_u32 s30, 0, s29
	v_fmac_f32_e32 v4, 0x4f800000, v5
	v_rcp_f32_e32 v4, v4
	v_mul_f32_e32 v4, 0x5f7ffffc, v4
	v_mul_f32_e32 v5, 0x2f800000, v4
	v_trunc_f32_e32 v5, v5
	v_fmac_f32_e32 v4, 0xcf800000, v5
	v_cvt_u32_f32_e32 v5, v5
	v_cvt_u32_f32_e32 v4, v4
	v_mul_lo_u32 v6, s0, v5
	v_mul_hi_u32 v9, s0, v4
	v_mul_lo_u32 v10, s30, v4
	v_add_nc_u32_e32 v6, v9, v6
	v_mul_lo_u32 v9, s0, v4
	v_add_nc_u32_e32 v6, v6, v10
	v_mul_hi_u32 v10, v4, v9
	v_mul_lo_u32 v11, v4, v6
	v_mul_hi_u32 v12, v4, v6
	v_mul_hi_u32 v13, v5, v9
	v_mul_lo_u32 v9, v5, v9
	v_mul_hi_u32 v14, v5, v6
	v_mul_lo_u32 v6, v5, v6
	v_add_co_u32 v10, vcc_lo, v10, v11
	v_add_co_ci_u32_e32 v11, vcc_lo, 0, v12, vcc_lo
	v_add_co_u32 v9, vcc_lo, v10, v9
	v_add_co_ci_u32_e32 v9, vcc_lo, v11, v13, vcc_lo
	v_add_co_ci_u32_e32 v10, vcc_lo, 0, v14, vcc_lo
	v_add_co_u32 v6, vcc_lo, v9, v6
	v_add_co_ci_u32_e32 v9, vcc_lo, 0, v10, vcc_lo
	v_add_co_u32 v4, vcc_lo, v4, v6
	v_add_co_ci_u32_e32 v5, vcc_lo, v5, v9, vcc_lo
	v_mul_hi_u32 v6, s0, v4
	v_mul_lo_u32 v10, s30, v4
	v_mul_lo_u32 v9, s0, v5
	v_add_nc_u32_e32 v6, v6, v9
	v_mul_lo_u32 v9, s0, v4
	v_add_nc_u32_e32 v6, v6, v10
	v_mul_hi_u32 v10, v4, v9
	v_mul_lo_u32 v11, v4, v6
	v_mul_hi_u32 v12, v4, v6
	v_mul_hi_u32 v13, v5, v9
	v_mul_lo_u32 v9, v5, v9
	v_mul_hi_u32 v14, v5, v6
	v_mul_lo_u32 v6, v5, v6
	v_add_co_u32 v10, vcc_lo, v10, v11
	v_add_co_ci_u32_e32 v11, vcc_lo, 0, v12, vcc_lo
	v_add_co_u32 v9, vcc_lo, v10, v9
	v_add_co_ci_u32_e32 v9, vcc_lo, v11, v13, vcc_lo
	v_add_co_ci_u32_e32 v10, vcc_lo, 0, v14, vcc_lo
	v_add_co_u32 v6, vcc_lo, v9, v6
	v_add_co_ci_u32_e32 v9, vcc_lo, 0, v10, vcc_lo
	v_add_co_u32 v6, vcc_lo, v4, v6
	v_add_co_ci_u32_e32 v11, vcc_lo, v5, v9, vcc_lo
	v_mul_hi_u32 v13, v7, v6
	v_mad_u64_u32 v[9:10], null, v8, v6, 0
	v_mad_u64_u32 v[4:5], null, v7, v11, 0
	;; [unrolled: 1-line block ×3, first 2 shown]
	v_add_co_u32 v4, vcc_lo, v13, v4
	v_add_co_ci_u32_e32 v5, vcc_lo, 0, v5, vcc_lo
	v_add_co_u32 v4, vcc_lo, v4, v9
	v_add_co_ci_u32_e32 v4, vcc_lo, v5, v10, vcc_lo
	v_add_co_ci_u32_e32 v5, vcc_lo, 0, v12, vcc_lo
	v_add_co_u32 v9, vcc_lo, v4, v11
	v_add_co_ci_u32_e32 v6, vcc_lo, 0, v5, vcc_lo
	v_mul_lo_u32 v10, s29, v9
	v_mad_u64_u32 v[4:5], null, s28, v9, 0
	v_mul_lo_u32 v11, s28, v6
	v_sub_co_u32 v4, vcc_lo, v7, v4
	v_add3_u32 v5, v5, v11, v10
	v_sub_nc_u32_e32 v10, v8, v5
	v_subrev_co_ci_u32_e64 v10, s0, s29, v10, vcc_lo
	v_add_co_u32 v11, s0, v9, 2
	v_add_co_ci_u32_e64 v12, s0, 0, v6, s0
	v_sub_co_u32 v13, s0, v4, s28
	v_sub_co_ci_u32_e32 v5, vcc_lo, v8, v5, vcc_lo
	v_subrev_co_ci_u32_e64 v10, s0, 0, v10, s0
	v_cmp_le_u32_e32 vcc_lo, s28, v13
	v_cmp_eq_u32_e64 s0, s29, v5
	v_cndmask_b32_e64 v13, 0, -1, vcc_lo
	v_cmp_le_u32_e32 vcc_lo, s29, v10
	v_cndmask_b32_e64 v14, 0, -1, vcc_lo
	v_cmp_le_u32_e32 vcc_lo, s28, v4
	v_cndmask_b32_e64 v4, 0, -1, vcc_lo
	v_cmp_le_u32_e32 vcc_lo, s29, v5
	v_cndmask_b32_e64 v15, 0, -1, vcc_lo
	v_cmp_eq_u32_e32 vcc_lo, s29, v10
	v_cndmask_b32_e64 v4, v15, v4, s0
	v_cndmask_b32_e32 v10, v14, v13, vcc_lo
	v_add_co_u32 v13, vcc_lo, v9, 1
	v_add_co_ci_u32_e32 v14, vcc_lo, 0, v6, vcc_lo
	v_cmp_ne_u32_e32 vcc_lo, 0, v10
	v_cndmask_b32_e32 v5, v14, v12, vcc_lo
	v_cndmask_b32_e32 v10, v13, v11, vcc_lo
	v_cmp_ne_u32_e32 vcc_lo, 0, v4
	v_cndmask_b32_e32 v6, v6, v5, vcc_lo
	v_cndmask_b32_e32 v5, v9, v10, vcc_lo
.LBB0_4:                                ;   in Loop: Header=BB0_2 Depth=1
	s_andn2_saveexec_b32 s0, s1
	s_cbranch_execz .LBB0_6
; %bb.5:                                ;   in Loop: Header=BB0_2 Depth=1
	v_cvt_f32_u32_e32 v4, s28
	s_sub_i32 s1, 0, s28
	v_rcp_iflag_f32_e32 v4, v4
	v_mul_f32_e32 v4, 0x4f7ffffe, v4
	v_cvt_u32_f32_e32 v4, v4
	v_mul_lo_u32 v5, s1, v4
	v_mul_hi_u32 v5, v4, v5
	v_add_nc_u32_e32 v4, v4, v5
	v_mul_hi_u32 v4, v7, v4
	v_mul_lo_u32 v5, v4, s28
	v_add_nc_u32_e32 v6, 1, v4
	v_sub_nc_u32_e32 v5, v7, v5
	v_subrev_nc_u32_e32 v9, s28, v5
	v_cmp_le_u32_e32 vcc_lo, s28, v5
	v_cndmask_b32_e32 v5, v5, v9, vcc_lo
	v_cndmask_b32_e32 v4, v4, v6, vcc_lo
	v_cmp_le_u32_e32 vcc_lo, s28, v5
	v_add_nc_u32_e32 v6, 1, v4
	v_cndmask_b32_e32 v5, v4, v6, vcc_lo
	v_mov_b32_e32 v6, v3
.LBB0_6:                                ;   in Loop: Header=BB0_2 Depth=1
	s_or_b32 exec_lo, exec_lo, s0
	v_mul_lo_u32 v4, v6, s28
	v_mul_lo_u32 v11, v5, s29
	s_load_dwordx2 s[0:1], s[22:23], 0x0
	v_mad_u64_u32 v[9:10], null, v5, s28, 0
	s_load_dwordx2 s[28:29], s[6:7], 0x0
	s_add_u32 s26, s26, 1
	s_addc_u32 s27, s27, 0
	s_add_u32 s6, s6, 8
	s_addc_u32 s7, s7, 0
	s_add_u32 s22, s22, 8
	v_add3_u32 v4, v10, v11, v4
	v_sub_co_u32 v7, vcc_lo, v7, v9
	s_addc_u32 s23, s23, 0
	s_add_u32 s24, s24, 8
	v_sub_co_ci_u32_e32 v4, vcc_lo, v8, v4, vcc_lo
	s_addc_u32 s25, s25, 0
	s_waitcnt lgkmcnt(0)
	v_mul_lo_u32 v8, s0, v4
	v_mul_lo_u32 v9, s1, v7
	v_mad_u64_u32 v[47:48], null, s0, v7, v[47:48]
	v_mul_lo_u32 v4, s28, v4
	v_mul_lo_u32 v10, s29, v7
	v_mad_u64_u32 v[1:2], null, s28, v7, v[1:2]
	v_cmp_ge_u64_e64 s0, s[26:27], s[14:15]
	v_add3_u32 v48, v9, v48, v8
	v_add3_u32 v2, v10, v2, v4
	s_and_b32 vcc_lo, exec_lo, s0
	s_cbranch_vccnz .LBB0_9
; %bb.7:                                ;   in Loop: Header=BB0_2 Depth=1
	v_mov_b32_e32 v8, v6
	v_mov_b32_e32 v7, v5
	s_branch .LBB0_2
.LBB0_8:
	v_mov_b32_e32 v1, v47
	v_mov_b32_e32 v5, v7
	;; [unrolled: 1-line block ×4, first 2 shown]
.LBB0_9:
	s_load_dwordx2 s[0:1], s[4:5], 0x28
	v_mul_hi_u32 v4, 0x2222223, v0
	s_lshl_b64 s[6:7], s[14:15], 3
                                        ; implicit-def: $vgpr3
	s_add_u32 s4, s18, s6
	s_addc_u32 s5, s19, s7
	s_waitcnt lgkmcnt(0)
	v_cmp_gt_u64_e32 vcc_lo, s[0:1], v[5:6]
	v_cmp_le_u64_e64 s0, s[0:1], v[5:6]
	s_and_saveexec_b32 s1, s0
	s_xor_b32 s0, exec_lo, s1
; %bb.10:
	v_mul_u32_u24_e32 v3, 0x78, v4
                                        ; implicit-def: $vgpr4
                                        ; implicit-def: $vgpr47_vgpr48
	v_sub_nc_u32_e32 v3, v0, v3
                                        ; implicit-def: $vgpr0
; %bb.11:
	s_or_saveexec_b32 s1, s0
	s_load_dwordx2 s[4:5], s[4:5], 0x0
                                        ; implicit-def: $vgpr8
                                        ; implicit-def: $vgpr10
                                        ; implicit-def: $vgpr14
                                        ; implicit-def: $vgpr12
                                        ; implicit-def: $vgpr28
                                        ; implicit-def: $vgpr20
                                        ; implicit-def: $vgpr26
                                        ; implicit-def: $vgpr18
                                        ; implicit-def: $vgpr24
                                        ; implicit-def: $vgpr16
                                        ; implicit-def: $vgpr22
                                        ; implicit-def: $vgpr30
                                        ; implicit-def: $vgpr34
                                        ; implicit-def: $vgpr32
                                        ; implicit-def: $vgpr44
                                        ; implicit-def: $vgpr38
                                        ; implicit-def: $vgpr46
                                        ; implicit-def: $vgpr36
                                        ; implicit-def: $vgpr42
                                        ; implicit-def: $vgpr40
	s_xor_b32 exec_lo, exec_lo, s1
	s_cbranch_execz .LBB0_15
; %bb.12:
	s_add_u32 s6, s16, s6
	s_addc_u32 s7, s17, s7
	v_mul_u32_u24_e32 v3, 0x78, v4
	s_load_dwordx2 s[6:7], s[6:7], 0x0
	v_lshlrev_b64 v[7:8], 3, v[47:48]
                                        ; implicit-def: $vgpr39
                                        ; implicit-def: $vgpr41
                                        ; implicit-def: $vgpr35
                                        ; implicit-def: $vgpr45
                                        ; implicit-def: $vgpr37
                                        ; implicit-def: $vgpr43
                                        ; implicit-def: $vgpr33
	v_sub_nc_u32_e32 v3, v0, v3
	v_mad_u64_u32 v[9:10], null, s20, v3, 0
	v_add_nc_u32_e32 v22, 0xc0, v3
	v_or_b32_e32 v24, 0x180, v3
	v_add_nc_u32_e32 v25, 0x240, v3
	v_or_b32_e32 v26, 0x300, v3
	v_add_nc_u32_e32 v28, 0x540, v3
	v_mad_u64_u32 v[11:12], null, s20, v22, 0
	v_mov_b32_e32 v0, v10
	v_mad_u64_u32 v[13:14], null, s20, v24, 0
	s_waitcnt lgkmcnt(0)
	v_mul_lo_u32 v10, s7, v5
	v_mul_lo_u32 v23, s6, v6
	v_mad_u64_u32 v[15:16], null, s6, v5, 0
	v_mad_u64_u32 v[17:18], null, s20, v25, 0
	;; [unrolled: 1-line block ×3, first 2 shown]
	v_mov_b32_e32 v0, v12
	v_mov_b32_e32 v4, v14
	v_add3_u32 v16, v16, v23, v10
	v_mad_u64_u32 v[20:21], null, s20, v26, 0
	v_mad_u64_u32 v[22:23], null, s21, v22, v[0:1]
	v_lshlrev_b64 v[14:15], 3, v[15:16]
	v_mov_b32_e32 v12, v18
	v_mov_b32_e32 v10, v19
	v_mad_u64_u32 v[18:19], null, s21, v24, v[4:5]
	v_add_nc_u32_e32 v19, 0x3c0, v3
	v_add_co_u32 v0, s0, s8, v14
	v_mad_u64_u32 v[23:24], null, s21, v25, v[12:13]
	v_add_co_ci_u32_e64 v4, s0, s9, v15, s0
	v_mov_b32_e32 v12, v22
	v_lshlrev_b64 v[9:10], 3, v[9:10]
	v_add_co_u32 v0, s0, v0, v7
	v_add_co_ci_u32_e64 v4, s0, v4, v8, s0
	v_lshlrev_b64 v[7:8], 3, v[11:12]
	v_add_co_u32 v9, s0, v0, v9
	v_add_co_ci_u32_e64 v10, s0, v4, v10, s0
	v_mov_b32_e32 v14, v18
	v_mov_b32_e32 v18, v23
	v_add_co_u32 v11, s0, v0, v7
	v_mov_b32_e32 v7, v21
	v_add_co_ci_u32_e64 v12, s0, v4, v8, s0
	v_lshlrev_b64 v[15:16], 3, v[17:18]
	v_mad_u64_u32 v[17:18], null, s20, v19, 0
	v_mad_u64_u32 v[7:8], null, s21, v26, v[7:8]
	v_lshlrev_b64 v[13:14], 3, v[13:14]
	v_or_b32_e32 v26, 0x480, v3
	v_mad_u64_u32 v[24:25], null, s20, v28, 0
	v_add_nc_u32_e32 v31, 0x6c0, v3
	s_mov_b32 s6, exec_lo
	v_mad_u64_u32 v[22:23], null, s20, v26, 0
	v_add_co_u32 v13, s0, v0, v13
	v_mov_b32_e32 v21, v7
	v_mov_b32_e32 v7, v18
	v_add_co_ci_u32_e64 v14, s0, v4, v14, s0
	v_add_co_u32 v15, s0, v0, v15
	v_add_co_ci_u32_e64 v16, s0, v4, v16, s0
	v_mad_u64_u32 v[18:19], null, s21, v19, v[7:8]
	s_clause 0x3
	global_load_dwordx2 v[7:8], v[9:10], off
	global_load_dwordx2 v[9:10], v[11:12], off
	;; [unrolled: 1-line block ×4, first 2 shown]
	v_mov_b32_e32 v15, v23
	v_lshlrev_b64 v[19:20], 3, v[20:21]
	v_or_b32_e32 v21, 0x600, v3
	v_mad_u64_u32 v[15:16], null, s21, v26, v[15:16]
	v_mad_u64_u32 v[26:27], null, s20, v21, 0
	v_mov_b32_e32 v16, v25
	v_add_co_u32 v19, s0, v0, v19
	v_add_co_ci_u32_e64 v20, s0, v4, v20, s0
	v_mad_u64_u32 v[28:29], null, s21, v28, v[16:17]
	v_lshlrev_b64 v[17:18], 3, v[17:18]
	v_mad_u64_u32 v[29:30], null, s20, v31, 0
	v_mov_b32_e32 v16, v27
	v_mov_b32_e32 v23, v15
	;; [unrolled: 1-line block ×3, first 2 shown]
	v_mad_u64_u32 v[15:16], null, s21, v21, v[16:17]
	v_mov_b32_e32 v16, v30
	v_add_co_u32 v17, s0, v0, v17
	v_lshlrev_b64 v[21:22], 3, v[22:23]
	v_add_co_ci_u32_e64 v18, s0, v4, v18, s0
	v_mad_u64_u32 v[30:31], null, s21, v31, v[16:17]
	v_mov_b32_e32 v27, v15
	v_lshlrev_b64 v[23:24], 3, v[24:25]
	v_add_co_u32 v15, s0, v0, v21
	v_add_co_ci_u32_e64 v16, s0, v4, v22, s0
	v_lshlrev_b64 v[21:22], 3, v[26:27]
	v_add_co_u32 v23, s0, v0, v23
	v_lshlrev_b64 v[25:26], 3, v[29:30]
	v_add_co_ci_u32_e64 v24, s0, v4, v24, s0
	v_add_co_u32 v21, s0, v0, v21
	v_add_co_ci_u32_e64 v22, s0, v4, v22, s0
	v_add_co_u32 v29, s0, v0, v25
	v_add_co_ci_u32_e64 v30, s0, v4, v26, s0
	s_clause 0x5
	global_load_dwordx2 v[27:28], v[19:20], off
	global_load_dwordx2 v[19:20], v[17:18], off
	;; [unrolled: 1-line block ×6, first 2 shown]
                                        ; implicit-def: $vgpr31
                                        ; implicit-def: $vgpr29
                                        ; implicit-def: $vgpr21
	v_cmpx_gt_u32_e32 0x48, v3
	s_cbranch_execz .LBB0_14
; %bb.13:
	v_add_nc_u32_e32 v35, 0x78, v3
	v_add_nc_u32_e32 v38, 0x1f8, v3
	;; [unrolled: 1-line block ×5, first 2 shown]
	v_mad_u64_u32 v[21:22], null, s20, v35, 0
	v_mad_u64_u32 v[31:32], null, s20, v38, 0
	;; [unrolled: 1-line block ×4, first 2 shown]
	s_waitcnt vmcnt(1)
	v_mad_u64_u32 v[35:36], null, s21, v35, v[22:23]
	v_mov_b32_e32 v22, v32
	v_add_nc_u32_e32 v46, 0x4f8, v3
	v_mad_u64_u32 v[36:37], null, s21, v37, v[30:31]
	v_mov_b32_e32 v32, v34
	v_mad_u64_u32 v[37:38], null, s21, v38, v[22:23]
	v_add_nc_u32_e32 v38, 0x378, v3
	v_mov_b32_e32 v22, v35
	v_mad_u64_u32 v[34:35], null, s21, v39, v[32:33]
	v_mov_b32_e32 v30, v36
	v_mad_u64_u32 v[35:36], null, s20, v38, 0
	v_lshlrev_b64 v[21:22], 3, v[21:22]
	v_mov_b32_e32 v32, v37
	v_lshlrev_b64 v[29:30], 3, v[29:30]
	v_lshlrev_b64 v[33:34], 3, v[33:34]
	v_mad_u64_u32 v[41:42], null, s20, v46, 0
	v_add_co_u32 v21, s0, v0, v21
	v_lshlrev_b64 v[31:32], 3, v[31:32]
	v_mad_u64_u32 v[36:37], null, s21, v38, v[36:37]
	v_mad_u64_u32 v[37:38], null, s20, v43, 0
	v_add_co_ci_u32_e64 v22, s0, v4, v22, s0
	v_add_co_u32 v29, s0, v0, v29
	v_add_co_ci_u32_e64 v30, s0, v4, v30, s0
	v_add_co_u32 v31, s0, v0, v31
	v_add_co_ci_u32_e64 v32, s0, v4, v32, s0
	v_add_co_u32 v39, s0, v0, v33
	v_mov_b32_e32 v33, v38
	v_add_nc_u32_e32 v48, 0x5b8, v3
	v_add_co_ci_u32_e64 v40, s0, v4, v34, s0
	v_add_nc_u32_e32 v53, 0x738, v3
	v_mad_u64_u32 v[43:44], null, s21, v43, v[33:34]
	v_mad_u64_u32 v[44:45], null, s20, v48, 0
	s_clause 0x3
	global_load_dwordx2 v[21:22], v[21:22], off
	global_load_dwordx2 v[29:30], v[29:30], off
	;; [unrolled: 1-line block ×4, first 2 shown]
	v_mov_b32_e32 v39, v42
	v_lshlrev_b64 v[35:36], 3, v[35:36]
	v_mov_b32_e32 v38, v43
	v_add_nc_u32_e32 v43, 0x678, v3
	v_mad_u64_u32 v[39:40], null, s21, v46, v[39:40]
	v_mov_b32_e32 v40, v45
	v_lshlrev_b64 v[37:38], 3, v[37:38]
	v_mad_u64_u32 v[46:47], null, s20, v43, 0
	v_add_co_u32 v35, s0, v0, v35
	v_mad_u64_u32 v[50:51], null, s21, v48, v[40:41]
	v_mad_u64_u32 v[51:52], null, s20, v53, 0
	v_mov_b32_e32 v40, v47
	v_mov_b32_e32 v42, v39
	v_add_co_ci_u32_e64 v36, s0, v4, v36, s0
	v_mov_b32_e32 v45, v50
	v_mad_u64_u32 v[39:40], null, s21, v43, v[40:41]
	v_lshlrev_b64 v[41:42], 3, v[41:42]
	v_mov_b32_e32 v40, v52
	v_add_co_u32 v37, s0, v0, v37
	v_lshlrev_b64 v[43:44], 3, v[44:45]
	v_add_co_ci_u32_e64 v38, s0, v4, v38, s0
	v_mad_u64_u32 v[52:53], null, s21, v53, v[40:41]
	v_mov_b32_e32 v47, v39
	v_add_co_u32 v41, s0, v0, v41
	v_add_co_ci_u32_e64 v42, s0, v4, v42, s0
	v_lshlrev_b64 v[39:40], 3, v[46:47]
	v_add_co_u32 v45, s0, v0, v43
	v_add_co_ci_u32_e64 v46, s0, v4, v44, s0
	v_lshlrev_b64 v[43:44], 3, v[51:52]
	v_add_co_u32 v47, s0, v0, v39
	v_add_co_ci_u32_e64 v48, s0, v4, v40, s0
	v_add_co_u32 v50, s0, v0, v43
	v_add_co_ci_u32_e64 v51, s0, v4, v44, s0
	s_clause 0x5
	global_load_dwordx2 v[43:44], v[35:36], off
	global_load_dwordx2 v[39:40], v[37:38], off
	;; [unrolled: 1-line block ×6, first 2 shown]
.LBB0_14:
	s_or_b32 exec_lo, exec_lo, s6
.LBB0_15:
	s_or_b32 exec_lo, exec_lo, s1
	s_waitcnt vmcnt(3)
	v_add_f32_e32 v0, v27, v25
	s_waitcnt vmcnt(1)
	v_add_f32_e32 v4, v13, v23
	v_add_f32_e32 v47, v7, v13
	v_sub_f32_e32 v50, v28, v26
	v_sub_f32_e32 v48, v14, v24
	v_fma_f32 v55, -0.5, v0, v7
	v_fmac_f32_e32 v7, -0.5, v4
	v_sub_f32_e32 v0, v13, v27
	v_sub_f32_e32 v4, v23, v25
	;; [unrolled: 1-line block ×4, first 2 shown]
	v_fmamk_f32 v53, v50, 0xbf737871, v7
	v_add_f32_e32 v54, v19, v17
	v_add_f32_e32 v56, v0, v4
	v_fmac_f32_e32 v7, 0x3f737871, v50
	s_waitcnt vmcnt(0)
	v_add_f32_e32 v4, v11, v15
	v_add_f32_e32 v0, v51, v52
	v_fmac_f32_e32 v53, 0x3f167918, v48
	v_add_f32_e32 v51, v9, v11
	v_fmac_f32_e32 v7, 0xbf167918, v48
	v_fma_f32 v63, -0.5, v54, v9
	v_fmac_f32_e32 v9, -0.5, v4
	v_sub_f32_e32 v4, v20, v18
	v_fmac_f32_e32 v53, 0x3e9e377a, v0
	v_sub_f32_e32 v52, v19, v11
	v_fmac_f32_e32 v7, 0x3e9e377a, v0
	v_sub_f32_e32 v0, v17, v15
	v_sub_f32_e32 v54, v11, v19
	v_fmamk_f32 v64, v4, 0xbf737871, v9
	v_sub_f32_e32 v57, v12, v16
	v_sub_f32_e32 v58, v15, v17
	v_fmac_f32_e32 v9, 0x3f737871, v4
	v_add_f32_e32 v59, v12, v16
	v_sub_f32_e32 v61, v11, v15
	v_add_f32_e32 v11, v20, v18
	v_add_f32_e32 v0, v52, v0
	v_fmac_f32_e32 v64, 0x3f167918, v57
	v_add_f32_e32 v52, v54, v58
	v_fmac_f32_e32 v9, 0xbf167918, v57
	v_fma_f32 v66, -0.5, v59, v10
	v_sub_f32_e32 v54, v19, v17
	v_fma_f32 v11, -0.5, v11, v10
	v_fmac_f32_e32 v64, 0x3e9e377a, v0
	v_sub_f32_e32 v58, v12, v20
	v_sub_f32_e32 v59, v20, v12
	;; [unrolled: 1-line block ×3, first 2 shown]
	v_fmamk_f32 v65, v54, 0x3f737871, v66
	v_fmac_f32_e32 v66, 0xbf737871, v54
	v_sub_f32_e32 v62, v16, v18
	v_fmac_f32_e32 v9, 0x3e9e377a, v0
	v_fmamk_f32 v67, v61, 0xbf737871, v11
	v_add_f32_e32 v0, v47, v27
	v_add_f32_e32 v59, v59, v60
	v_fmac_f32_e32 v65, 0xbf167918, v61
	v_fmac_f32_e32 v66, 0x3f167918, v61
	v_add_f32_e32 v58, v58, v62
	v_fmamk_f32 v68, v57, 0x3f737871, v63
	v_fmac_f32_e32 v67, 0xbf167918, v54
	v_add_f32_e32 v19, v51, v19
	v_add_f32_e32 v0, v0, v25
	v_fmac_f32_e32 v63, 0xbf737871, v57
	v_fmac_f32_e32 v65, 0x3e9e377a, v59
	;; [unrolled: 1-line block ×3, first 2 shown]
	v_and_b32_e32 v49, 1, v49
	v_fmamk_f32 v59, v48, 0x3f737871, v55
	v_fmac_f32_e32 v68, 0x3f167918, v4
	v_fmac_f32_e32 v67, 0x3e9e377a, v58
	v_add_f32_e32 v17, v19, v17
	v_add_f32_e32 v19, v0, v23
	v_mul_f32_e32 v0, 0x3e9e377a, v9
	v_fmac_f32_e32 v11, 0x3f737871, v61
	v_fmac_f32_e32 v63, 0xbf167918, v4
	;; [unrolled: 1-line block ×4, first 2 shown]
	v_mul_f32_e32 v51, 0x3f167918, v67
	v_mul_f32_e32 v60, 0x3e9e377a, v64
	v_fma_f32 v62, 0x3f737871, v66, -v0
	v_mul_u32_u24_e32 v0, 10, v3
	v_fmac_f32_e32 v55, 0xbf737871, v48
	v_fmac_f32_e32 v11, 0x3f167918, v54
	;; [unrolled: 1-line block ×3, first 2 shown]
	v_cmp_eq_u32_e64 s0, 1, v49
	v_fmac_f32_e32 v59, 0x3e9e377a, v56
	v_add_f32_e32 v17, v17, v15
	v_fmac_f32_e32 v51, 0x3f4f1bbd, v68
	v_fmac_f32_e32 v60, 0x3f737871, v65
	v_lshl_add_u32 v0, v0, 2, 0
	v_fmac_f32_e32 v55, 0xbf167918, v50
	v_fmac_f32_e32 v11, 0x3e9e377a, v58
	v_mul_f32_e32 v15, 0x3f4f1bbd, v63
	v_cndmask_b32_e64 v4, 0, 0x780, s0
	v_add_f32_e32 v47, v19, v17
	v_add_f32_e32 v48, v59, v51
	;; [unrolled: 1-line block ×4, first 2 shown]
	v_fmac_f32_e32 v55, 0x3e9e377a, v56
	v_fma_f32 v56, 0x3f167918, v11, -v15
	v_lshl_add_u32 v15, v4, 2, v0
	v_sub_f32_e32 v54, v19, v17
	v_add_f32_e32 v17, v43, v41
	v_sub_f32_e32 v51, v59, v51
	v_sub_f32_e32 v52, v53, v60
	v_add_f32_e32 v53, v55, v56
	ds_write2_b64 v15, v[47:48], v[49:50] offset1:1
	v_sub_f32_e32 v57, v55, v56
	v_sub_f32_e32 v19, v33, v43
	;; [unrolled: 1-line block ×3, first 2 shown]
	v_fma_f32 v49, -0.5, v17, v21
	v_sub_f32_e32 v17, v34, v46
	v_sub_f32_e32 v56, v7, v62
	v_add_f32_e32 v7, v33, v45
	ds_write2_b64 v15, v[53:54], v[51:52] offset0:2 offset1:3
	v_add_f32_e32 v19, v19, v47
	v_add_f32_e32 v47, v21, v33
	v_fmamk_f32 v50, v17, 0x3f737871, v49
	v_sub_f32_e32 v48, v44, v42
	v_fmac_f32_e32 v21, -0.5, v7
	v_fmac_f32_e32 v49, 0xbf737871, v17
	v_sub_f32_e32 v7, v43, v33
	v_sub_f32_e32 v51, v41, v45
	v_fmac_f32_e32 v50, 0x3f167918, v48
	v_fmamk_f32 v53, v48, 0xbf737871, v21
	v_fmac_f32_e32 v21, 0x3f737871, v48
	v_fmac_f32_e32 v49, 0xbf167918, v48
	v_add_f32_e32 v48, v7, v51
	v_add_f32_e32 v7, v35, v39
	v_fmac_f32_e32 v53, 0x3f167918, v17
	v_fmac_f32_e32 v21, 0xbf167918, v17
	v_sub_f32_e32 v51, v32, v38
	v_add_f32_e32 v54, v31, v37
	v_fma_f32 v7, -0.5, v7, v29
	v_fmac_f32_e32 v50, 0x3e9e377a, v19
	v_fmac_f32_e32 v49, 0x3e9e377a, v19
	;; [unrolled: 1-line block ×4, first 2 shown]
	v_sub_f32_e32 v19, v31, v39
	v_sub_f32_e32 v48, v37, v35
	v_fmamk_f32 v17, v51, 0x3f737871, v7
	v_sub_f32_e32 v52, v40, v36
	v_fmac_f32_e32 v7, 0xbf737871, v51
	v_add_f32_e32 v55, v29, v31
	v_fmac_f32_e32 v29, -0.5, v54
	v_add_f32_e32 v48, v48, v19
	v_fmac_f32_e32 v17, 0x3f167918, v52
	v_fmac_f32_e32 v7, 0xbf167918, v52
	v_sub_f32_e32 v54, v39, v31
	v_sub_f32_e32 v58, v35, v37
	v_fmamk_f32 v19, v52, 0xbf737871, v29
	v_fmac_f32_e32 v29, 0x3f737871, v52
	v_add_f32_e32 v52, v36, v40
	v_add_f32_e32 v59, v32, v38
	v_fmac_f32_e32 v17, 0x3e9e377a, v48
	v_fmac_f32_e32 v7, 0x3e9e377a, v48
	v_add_f32_e32 v48, v58, v54
	v_sub_f32_e32 v54, v32, v40
	v_sub_f32_e32 v58, v38, v36
	v_fma_f32 v70, -0.5, v52, v30
	v_sub_f32_e32 v31, v31, v37
	v_fma_f32 v71, -0.5, v59, v30
	v_sub_f32_e32 v52, v39, v35
	v_fmac_f32_e32 v19, 0x3f167918, v51
	v_fmac_f32_e32 v29, 0xbf167918, v51
	v_add_f32_e32 v51, v58, v54
	v_fmamk_f32 v69, v31, 0xbf737871, v70
	v_fmac_f32_e32 v70, 0x3f737871, v31
	v_sub_f32_e32 v54, v40, v32
	v_sub_f32_e32 v58, v36, v38
	v_fmamk_f32 v72, v52, 0x3f737871, v71
	v_fmac_f32_e32 v71, 0xbf737871, v52
	v_fmac_f32_e32 v69, 0xbf167918, v52
	;; [unrolled: 1-line block ×3, first 2 shown]
	v_add_f32_e32 v52, v58, v54
	v_fmac_f32_e32 v72, 0xbf167918, v31
	v_fmac_f32_e32 v71, 0x3f167918, v31
	;; [unrolled: 1-line block ×3, first 2 shown]
	v_add_f32_e32 v31, v47, v43
	v_add_f32_e32 v39, v55, v39
	v_fmac_f32_e32 v72, 0x3e9e377a, v52
	v_fmac_f32_e32 v19, 0x3e9e377a, v48
	;; [unrolled: 1-line block ×5, first 2 shown]
	v_add_f32_e32 v31, v31, v41
	v_add_f32_e32 v47, v35, v39
	v_mul_f32_e32 v54, 0x3f737871, v72
	v_mul_f32_e32 v48, 0x3e9e377a, v29
	;; [unrolled: 1-line block ×4, first 2 shown]
	v_add_f32_e32 v35, v45, v31
	v_fmac_f32_e32 v54, 0x3e9e377a, v19
	v_fma_f32 v31, 0x3f737871, v71, -v48
	v_fma_f32 v55, 0x3f167918, v70, -v51
	v_add_f32_e32 v37, v37, v47
	v_fmac_f32_e32 v39, 0x3f167918, v69
	v_add_f32_e32 v47, v53, v54
	v_add_f32_e32 v48, v21, v31
	;; [unrolled: 1-line block ×3, first 2 shown]
	v_sub_f32_e32 v52, v35, v37
	v_sub_f32_e32 v54, v53, v54
	;; [unrolled: 1-line block ×3, first 2 shown]
	v_cmp_gt_u32_e64 s1, 0x48, v3
	ds_write_b64 v15, v[56:57] offset:32
	s_and_saveexec_b32 s0, s1
	s_cbranch_execz .LBB0_17
; %bb.16:
	v_sub_f32_e32 v56, v49, v55
	v_add_f32_e32 v50, v50, v39
	v_add_f32_e32 v49, v35, v37
	v_add_nc_u32_e32 v35, 0x12c0, v15
	v_add_nc_u32_e32 v37, 0x12d0, v15
	v_sub_f32_e32 v55, v21, v31
	ds_write2_b64 v35, v[49:50], v[47:48] offset1:1
	ds_write2_b64 v37, v[51:52], v[53:54] offset1:1
	ds_write_b64 v15, v[55:56] offset:4832
.LBB0_17:
	s_or_b32 exec_lo, exec_lo, s0
	v_lshlrev_b32_e32 v4, 2, v4
	v_mul_i32_i24_e32 v21, 0xffffffdc, v3
	v_lshlrev_b32_e32 v35, 2, v3
	s_waitcnt lgkmcnt(0)
	s_barrier
	buffer_gl0_inv
	v_add3_u32 v0, v0, v21, v4
	v_add3_u32 v31, 0, v4, v35
	v_cmp_gt_u32_e64 s0, 0x50, v3
	v_add_nc_u32_e32 v21, 0x180, v0
	v_add_nc_u32_e32 v37, 0x680, v0
	;; [unrolled: 1-line block ×5, first 2 shown]
	ds_read2_b32 v[49:50], v21 offset0:24 offset1:224
	ds_read2_b32 v[61:62], v37 offset0:24 offset1:224
	;; [unrolled: 1-line block ×5, first 2 shown]
	ds_read_b32 v37, v31
	ds_read_b32 v39, v0 offset:6880
	s_and_saveexec_b32 s6, s0
	s_cbranch_execz .LBB0_19
; %bb.18:
	v_add_nc_u32_e32 v21, 0xc0, v0
	ds_read2st64_b32 v[47:48], v21 offset0:3 offset1:8
	ds_read2st64_b32 v[51:52], v21 offset0:13 offset1:18
	;; [unrolled: 1-line block ×3, first 2 shown]
.LBB0_19:
	s_or_b32 exec_lo, exec_lo, s6
	v_add_f32_e32 v21, v28, v26
	v_add_f32_e32 v74, v14, v24
	;; [unrolled: 1-line block ×4, first 2 shown]
	v_sub_f32_e32 v13, v13, v23
	v_sub_f32_e32 v23, v27, v25
	v_fma_f32 v21, -0.5, v21, v8
	v_fmac_f32_e32 v8, -0.5, v74
	v_add_f32_e32 v10, v10, v20
	v_sub_f32_e32 v25, v14, v28
	v_sub_f32_e32 v14, v28, v14
	;; [unrolled: 1-line block ×3, first 2 shown]
	v_fmamk_f32 v12, v23, 0x3f737871, v8
	v_fmac_f32_e32 v8, 0xbf737871, v23
	v_add_f32_e32 v10, v10, v18
	v_sub_f32_e32 v27, v24, v26
	v_add_f32_e32 v28, v73, v28
	v_fmamk_f32 v73, v13, 0xbf737871, v21
	v_fmac_f32_e32 v12, 0xbf167918, v13
	v_add_f32_e32 v14, v14, v75
	v_fmac_f32_e32 v8, 0x3f167918, v13
	v_add_f32_e32 v10, v10, v16
	v_mul_f32_e32 v16, 0x3e9e377a, v66
	v_add_f32_e32 v25, v25, v27
	v_fmac_f32_e32 v73, 0xbf167918, v23
	v_fmac_f32_e32 v21, 0x3f737871, v13
	v_mul_f32_e32 v13, 0xbf167918, v68
	v_fmac_f32_e32 v12, 0x3e9e377a, v14
	v_fmac_f32_e32 v8, 0x3e9e377a, v14
	v_mul_f32_e32 v14, 0xbf737871, v64
	v_fma_f32 v16, 0xbf737871, v9, -v16
	v_add_f32_e32 v9, v22, v34
	v_add_f32_e32 v26, v28, v26
	v_fmac_f32_e32 v73, 0x3e9e377a, v25
	v_fmac_f32_e32 v21, 0x3f167918, v23
	;; [unrolled: 1-line block ×3, first 2 shown]
	v_mul_f32_e32 v11, 0x3f4f1bbd, v11
	v_fmac_f32_e32 v14, 0x3e9e377a, v65
	v_add_f32_e32 v18, v44, v42
	v_add_f32_e32 v20, v9, v44
	;; [unrolled: 1-line block ×3, first 2 shown]
	v_fmac_f32_e32 v21, 0x3e9e377a, v25
	v_add_f32_e32 v25, v73, v13
	v_fma_f32 v11, 0xbf167918, v63, -v11
	v_add_f32_e32 v26, v12, v14
	v_fma_f32 v9, -0.5, v18, v22
	v_sub_f32_e32 v18, v33, v45
	v_sub_f32_e32 v65, v73, v13
	;; [unrolled: 1-line block ×3, first 2 shown]
	v_add_f32_e32 v12, v20, v42
	v_add_f32_e32 v13, v34, v46
	;; [unrolled: 1-line block ×5, first 2 shown]
	v_sub_f32_e32 v64, v28, v10
	v_fmamk_f32 v10, v18, 0xbf737871, v9
	v_sub_f32_e32 v14, v43, v41
	v_sub_f32_e32 v67, v8, v16
	;; [unrolled: 1-line block ×3, first 2 shown]
	v_add_f32_e32 v16, v46, v12
	v_fmac_f32_e32 v22, -0.5, v13
	v_sub_f32_e32 v8, v34, v44
	v_sub_f32_e32 v11, v46, v42
	v_fmac_f32_e32 v9, 0x3f737871, v18
	v_sub_f32_e32 v12, v44, v34
	v_sub_f32_e32 v13, v42, v46
	v_fmac_f32_e32 v10, 0xbf167918, v14
	v_fmamk_f32 v21, v14, 0x3f737871, v22
	v_add_f32_e32 v8, v8, v11
	v_fmac_f32_e32 v22, 0xbf737871, v14
	v_fmac_f32_e32 v9, 0x3f167918, v14
	v_add_f32_e32 v11, v12, v13
	v_add_f32_e32 v12, v30, v32
	v_fmac_f32_e32 v21, 0xbf167918, v18
	v_fmac_f32_e32 v22, 0x3f167918, v18
	;; [unrolled: 1-line block ×4, first 2 shown]
	v_add_f32_e32 v8, v12, v40
	v_fmac_f32_e32 v21, 0x3e9e377a, v11
	v_fmac_f32_e32 v22, 0x3e9e377a, v11
	v_mul_f32_e32 v14, 0xbf737871, v19
	v_mul_f32_e32 v11, 0x3e9e377a, v71
	;; [unrolled: 1-line block ×3, first 2 shown]
	v_add_f32_e32 v8, v36, v8
	v_mul_f32_e32 v17, 0xbf167918, v17
	v_fmac_f32_e32 v14, 0x3e9e377a, v72
	v_fma_f32 v18, 0xbf737871, v29, -v11
	v_fma_f32 v19, 0xbf167918, v7, -v12
	v_add_f32_e32 v20, v38, v8
	v_fmac_f32_e32 v17, 0x3f4f1bbd, v69
	v_add_f32_e32 v7, v21, v14
	v_add_f32_e32 v8, v22, v18
	v_add_f32_e32 v11, v9, v19
	v_sub_f32_e32 v12, v16, v20
	v_sub_f32_e32 v13, v10, v17
	;; [unrolled: 1-line block ×3, first 2 shown]
	v_add_nc_u32_e32 v23, 0x78, v3
	s_waitcnt lgkmcnt(0)
	s_barrier
	buffer_gl0_inv
	ds_write2_b64 v15, v[24:25], v[26:27] offset1:1
	ds_write2_b64 v15, v[63:64], v[65:66] offset0:2 offset1:3
	ds_write_b64 v15, v[67:68] offset:32
	s_and_saveexec_b32 s6, s1
	s_cbranch_execz .LBB0_21
; %bb.20:
	v_mul_u32_u24_e32 v15, 10, v23
	v_lshlrev_b32_e32 v21, 2, v15
	v_add_f32_e32 v15, v16, v20
	v_add_f32_e32 v16, v10, v17
	v_sub_f32_e32 v17, v22, v18
	v_sub_f32_e32 v18, v9, v19
	v_add3_u32 v10, 0, v21, v4
	ds_write2_b64 v10, v[15:16], v[7:8] offset1:1
	ds_write2_b64 v10, v[11:12], v[13:14] offset0:2 offset1:3
	ds_write_b64 v10, v[17:18] offset:32
.LBB0_21:
	s_or_b32 exec_lo, exec_lo, s6
	v_add_nc_u32_e32 v9, 0x180, v0
	v_add_nc_u32_e32 v15, 0x680, v0
	;; [unrolled: 1-line block ×5, first 2 shown]
	s_waitcnt lgkmcnt(0)
	s_barrier
	buffer_gl0_inv
	ds_read2_b32 v[9:10], v9 offset0:24 offset1:224
	ds_read2_b32 v[21:22], v15 offset0:24 offset1:224
	;; [unrolled: 1-line block ×5, first 2 shown]
	ds_read_b32 v33, v31
	ds_read_b32 v26, v0 offset:6880
	s_and_saveexec_b32 s1, s0
	s_cbranch_execz .LBB0_23
; %bb.22:
	v_add_nc_u32_e32 v13, 0xc0, v0
	ds_read2st64_b32 v[7:8], v13 offset0:3 offset1:8
	ds_read2st64_b32 v[11:12], v13 offset0:13 offset1:18
	ds_read2st64_b32 v[13:14], v13 offset0:23 offset1:28
.LBB0_23:
	s_or_b32 exec_lo, exec_lo, s1
	v_and_b32_e32 v24, 0xff, v3
	v_and_b32_e32 v36, 0xff, v23
	v_mov_b32_e32 v25, 5
	v_mov_b32_e32 v40, 0xcccd
	v_mul_lo_u16 v24, 0xcd, v24
	v_mul_lo_u16 v36, 0xcd, v36
	v_lshrrev_b16 v32, 11, v24
	v_lshrrev_b16 v36, 11, v36
	v_mul_lo_u16 v24, v32, 10
	v_mul_lo_u16 v38, v36, 10
	v_sub_nc_u16 v34, v3, v24
	v_sub_nc_u16 v38, v23, v38
	v_mul_u32_u24_sdwa v24, v34, v25 dst_sel:DWORD dst_unused:UNUSED_PAD src0_sel:BYTE_0 src1_sel:DWORD
	v_mul_u32_u24_sdwa v23, v38, v25 dst_sel:DWORD dst_unused:UNUSED_PAD src0_sel:BYTE_0 src1_sel:DWORD
	v_add_nc_u32_e32 v25, 0xf0, v3
	v_lshlrev_b32_e32 v24, 3, v24
	v_lshlrev_b32_e32 v23, 3, v23
	v_mul_u32_u24_sdwa v40, v25, v40 dst_sel:DWORD dst_unused:UNUSED_PAD src0_sel:WORD_0 src1_sel:DWORD
	s_clause 0x1
	global_load_dwordx4 v[27:30], v24, s[12:13]
	global_load_dwordx4 v[43:46], v23, s[12:13]
	v_lshrrev_b32_e32 v40, 19, v40
	s_clause 0x3
	global_load_dwordx4 v[63:66], v24, s[12:13] offset:16
	global_load_dwordx2 v[79:80], v24, s[12:13] offset:32
	global_load_dwordx4 v[67:70], v23, s[12:13] offset:16
	global_load_dwordx2 v[81:82], v23, s[12:13] offset:32
	v_mul_lo_u16 v41, v40, 10
	v_sub_nc_u16 v25, v25, v41
	v_and_b32_e32 v42, 0xffff, v25
	v_mul_u32_u24_e32 v23, 5, v42
	v_lshlrev_b32_e32 v83, 3, v23
	s_clause 0x2
	global_load_dwordx4 v[71:74], v83, s[12:13]
	global_load_dwordx4 v[75:78], v83, s[12:13] offset:16
	global_load_dwordx2 v[83:84], v83, s[12:13] offset:32
	s_waitcnt vmcnt(0) lgkmcnt(0)
	s_barrier
	buffer_gl0_inv
	v_mul_f32_e32 v41, v10, v28
	v_mul_f32_e32 v24, v50, v28
	;; [unrolled: 1-line block ×5, first 2 shown]
	v_fma_f32 v23, v50, v27, -v41
	v_fmac_f32_e32 v24, v10, v27
	v_fmac_f32_e32 v25, v22, v29
	v_and_b32_e32 v22, 0xffff, v32
	v_and_b32_e32 v27, 0xffff, v36
	v_mov_b32_e32 v32, 2
	v_fma_f32 v10, v62, v29, -v28
	v_lshl_add_u32 v36, v42, 2, 0
	v_mad_u32_u24 v22, 0xf0, v22, 0
	v_mad_u32_u24 v27, 0xf0, v27, 0
	v_lshlrev_b32_sdwa v28, v32, v34 dst_sel:DWORD dst_unused:UNUSED_PAD src0_sel:DWORD src1_sel:BYTE_0
	v_lshlrev_b32_sdwa v29, v32, v38 dst_sel:DWORD dst_unused:UNUSED_PAD src0_sel:DWORD src1_sel:BYTE_0
	v_mul_lo_u16 v38, v40, 60
	v_mul_f32_e32 v34, v20, v64
	v_mul_f32_e32 v42, v18, v66
	v_add3_u32 v41, v22, v28, v4
	v_add3_u32 v40, v27, v29, v4
	v_mul_f32_e32 v27, v21, v44
	v_mul_f32_e32 v22, v61, v44
	;; [unrolled: 1-line block ×4, first 2 shown]
	v_fma_f32 v50, v60, v63, -v34
	v_fma_f32 v44, v61, v43, -v27
	v_mul_f32_e32 v27, v59, v46
	v_fmac_f32_e32 v22, v21, v43
	v_fma_f32 v21, v59, v45, -v28
	v_mul_f32_e32 v28, v58, v66
	v_mul_f32_e32 v43, v16, v80
	v_fmac_f32_e32 v27, v19, v45
	v_mul_f32_e32 v45, v17, v68
	v_mul_f32_e32 v19, v57, v68
	v_fmac_f32_e32 v28, v18, v65
	v_mul_f32_e32 v18, v39, v82
	v_mul_f32_e32 v46, v15, v70
	;; [unrolled: 1-line block ×3, first 2 shown]
	v_fmac_f32_e32 v30, v20, v63
	v_fma_f32 v34, v58, v65, -v42
	v_fmac_f32_e32 v29, v16, v79
	v_fma_f32 v57, v57, v67, -v45
	v_fmac_f32_e32 v18, v26, v81
	v_mul_f32_e32 v26, v12, v76
	v_mul_f32_e32 v45, v52, v76
	;; [unrolled: 1-line block ×4, first 2 shown]
	v_fma_f32 v56, v56, v79, -v43
	v_fmac_f32_e32 v19, v17, v67
	v_fma_f32 v16, v55, v69, -v46
	v_mul_f32_e32 v46, v51, v74
	v_fma_f32 v58, v39, v81, -v59
	v_mul_f32_e32 v43, v48, v72
	v_mul_f32_e32 v17, v11, v74
	;; [unrolled: 1-line block ×5, first 2 shown]
	v_fma_f32 v55, v52, v75, -v26
	v_fmac_f32_e32 v45, v12, v75
	v_fmac_f32_e32 v42, v13, v77
	v_add_f32_e32 v12, v10, v34
	v_add_f32_e32 v13, v23, v50
	;; [unrolled: 1-line block ×3, first 2 shown]
	v_fmac_f32_e32 v20, v15, v69
	v_mul_f32_e32 v15, v8, v72
	v_add_f32_e32 v26, v50, v56
	v_fmac_f32_e32 v46, v11, v73
	v_add_f32_e32 v11, v37, v10
	v_add_f32_e32 v63, v19, v18
	;; [unrolled: 1-line block ×3, first 2 shown]
	v_fmac_f32_e32 v43, v8, v71
	v_fma_f32 v8, v51, v73, -v17
	v_fma_f32 v17, v54, v83, -v60
	v_fmac_f32_e32 v39, v14, v83
	v_sub_f32_e32 v14, v25, v28
	v_sub_f32_e32 v50, v50, v56
	v_fmac_f32_e32 v37, -0.5, v12
	v_add_f32_e32 v12, v13, v56
	v_fma_f32 v13, -0.5, v52, v24
	v_fma_f32 v15, v48, v71, -v15
	v_fma_f32 v48, v53, v77, -v59
	v_sub_f32_e32 v51, v30, v29
	v_add_f32_e32 v53, v49, v21
	v_add_f32_e32 v54, v21, v16
	;; [unrolled: 1-line block ×3, first 2 shown]
	v_fmac_f32_e32 v23, -0.5, v26
	v_sub_f32_e32 v57, v57, v58
	v_add_f32_e32 v64, v11, v34
	v_fma_f32 v11, -0.5, v63, v22
	v_sub_f32_e32 v62, v19, v18
	v_fmac_f32_e32 v44, -0.5, v61
	v_add_f32_e32 v56, v55, v17
	v_fmamk_f32 v63, v14, 0x3f5db3d7, v37
	v_fmac_f32_e32 v37, 0xbf5db3d7, v14
	v_fmamk_f32 v14, v50, 0xbf5db3d7, v13
	v_sub_f32_e32 v59, v27, v20
	v_add_f32_e32 v52, v53, v16
	v_fmac_f32_e32 v49, -0.5, v54
	v_add_f32_e32 v53, v60, v58
	v_add_f32_e32 v60, v45, v39
	v_fmamk_f32 v26, v51, 0x3f5db3d7, v23
	v_fmac_f32_e32 v23, 0xbf5db3d7, v51
	v_fmamk_f32 v54, v57, 0xbf5db3d7, v11
	v_add_f32_e32 v65, v64, v12
	v_sub_f32_e32 v64, v64, v12
	v_fmamk_f32 v12, v62, 0x3f5db3d7, v44
	v_fmac_f32_e32 v44, 0xbf5db3d7, v62
	v_fmac_f32_e32 v13, 0x3f5db3d7, v50
	v_fma_f32 v50, -0.5, v56, v15
	v_mul_f32_e32 v56, 0x3f5db3d7, v14
	v_fmamk_f32 v66, v59, 0x3f5db3d7, v49
	v_fmac_f32_e32 v49, 0xbf5db3d7, v59
	v_fmac_f32_e32 v11, 0x3f5db3d7, v57
	v_add_f32_e32 v57, v52, v53
	v_sub_f32_e32 v59, v52, v53
	v_fma_f32 v52, -0.5, v60, v43
	v_mul_f32_e32 v60, -0.5, v23
	v_mul_f32_e32 v62, 0x3f5db3d7, v54
	v_mul_f32_e32 v67, -0.5, v44
	v_sub_f32_e32 v58, v45, v39
	v_sub_f32_e32 v61, v55, v17
	v_fmac_f32_e32 v56, 0.5, v26
	v_fmac_f32_e32 v60, 0x3f5db3d7, v13
	v_fmac_f32_e32 v62, 0.5, v12
	v_fmac_f32_e32 v67, 0x3f5db3d7, v11
	v_fmamk_f32 v53, v58, 0x3f5db3d7, v50
	v_fmac_f32_e32 v50, 0xbf5db3d7, v58
	v_fmamk_f32 v51, v61, 0xbf5db3d7, v52
	v_fmac_f32_e32 v52, 0x3f5db3d7, v61
	v_add_f32_e32 v58, v63, v56
	v_add_f32_e32 v61, v37, v60
	v_sub_f32_e32 v56, v63, v56
	v_sub_f32_e32 v37, v37, v60
	v_add_f32_e32 v60, v66, v62
	v_add_f32_e32 v63, v49, v67
	v_sub_f32_e32 v62, v66, v62
	v_sub_f32_e32 v49, v49, v67
	ds_write2_b32 v41, v65, v58 offset1:10
	ds_write2_b32 v41, v61, v64 offset0:20 offset1:30
	ds_write2_b32 v41, v56, v37 offset0:40 offset1:50
	ds_write2_b32 v40, v57, v60 offset1:10
	ds_write2_b32 v40, v63, v59 offset0:20 offset1:30
	ds_write2_b32 v40, v62, v49 offset0:40 offset1:50
	s_and_saveexec_b32 s1, s0
	s_cbranch_execz .LBB0_25
; %bb.24:
	v_add_f32_e32 v37, v8, v48
	v_sub_f32_e32 v49, v46, v42
	v_add_f32_e32 v57, v47, v8
	v_add_f32_e32 v15, v15, v55
	v_mul_f32_e32 v56, -0.5, v50
	v_fma_f32 v37, -0.5, v37, v47
	v_mul_f32_e32 v47, 0x3f5db3d7, v51
	v_add_f32_e32 v55, v57, v48
	v_add_f32_e32 v15, v15, v17
	v_lshlrev_b32_sdwa v32, v32, v38 dst_sel:DWORD dst_unused:UNUSED_PAD src0_sel:DWORD src1_sel:WORD_0
	v_fmamk_f32 v17, v49, 0xbf5db3d7, v37
	v_fmac_f32_e32 v47, 0.5, v53
	v_fmac_f32_e32 v37, 0x3f5db3d7, v49
	v_fmac_f32_e32 v56, 0x3f5db3d7, v52
	v_sub_f32_e32 v49, v55, v15
	v_add_f32_e32 v15, v55, v15
	v_add3_u32 v32, v36, v32, v4
	v_add_f32_e32 v58, v37, v47
	v_sub_f32_e32 v57, v17, v56
	v_add_f32_e32 v17, v17, v56
	v_sub_f32_e32 v37, v37, v47
	ds_write2_b32 v32, v15, v58 offset1:10
	ds_write2_b32 v32, v17, v49 offset0:20 offset1:30
	ds_write2_b32 v32, v37, v57 offset0:40 offset1:50
.LBB0_25:
	s_or_b32 exec_lo, exec_lo, s1
	v_add_f32_e32 v15, v25, v28
	v_add_f32_e32 v24, v24, v30
	v_mul_f32_e32 v37, 0xbf5db3d7, v26
	v_add_f32_e32 v17, v33, v25
	v_sub_f32_e32 v10, v10, v34
	v_fmac_f32_e32 v33, -0.5, v15
	v_add_f32_e32 v15, v24, v29
	v_fmac_f32_e32 v37, 0.5, v14
	v_add_f32_e32 v14, v27, v20
	v_add3_u32 v24, 0, v35, v4
	v_mul_f32_e32 v47, -0.5, v13
	v_add_f32_e32 v13, v17, v28
	v_fmamk_f32 v49, v10, 0xbf5db3d7, v33
	v_fmac_f32_e32 v33, 0x3f5db3d7, v10
	v_add_f32_e32 v10, v9, v27
	v_fmac_f32_e32 v9, -0.5, v14
	v_sub_f32_e32 v14, v21, v16
	v_add_f32_e32 v16, v22, v19
	v_add_nc_u32_e32 v28, 0xa00, v24
	v_add_nc_u32_e32 v25, 0xe00, v0
	;; [unrolled: 1-line block ×7, first 2 shown]
	v_fmac_f32_e32 v47, 0xbf5db3d7, v23
	v_add_f32_e32 v55, v13, v15
	v_sub_f32_e32 v58, v13, v15
	v_add_f32_e32 v59, v10, v20
	v_fmamk_f32 v60, v14, 0xbf5db3d7, v9
	v_fmac_f32_e32 v9, 0x3f5db3d7, v14
	v_add_f32_e32 v61, v16, v18
	v_mul_f32_e32 v62, 0xbf5db3d7, v12
	v_mul_f32_e32 v63, -0.5, v11
	s_waitcnt lgkmcnt(0)
	s_barrier
	buffer_gl0_inv
	ds_read_b32 v34, v31
	ds_read_b32 v35, v0 offset:480
	ds_read2_b32 v[22:23], v26 offset0:112 offset1:232
	ds_read2_b32 v[20:21], v27 offset0:96 offset1:216
	;; [unrolled: 1-line block ×7, first 2 shown]
	v_fmac_f32_e32 v62, 0.5, v54
	v_fmac_f32_e32 v63, 0xbf5db3d7, v44
	v_add_f32_e32 v56, v49, v37
	v_add_f32_e32 v57, v33, v47
	v_sub_f32_e32 v37, v49, v37
	v_sub_f32_e32 v33, v33, v47
	v_add_f32_e32 v44, v59, v61
	v_add_f32_e32 v47, v60, v62
	;; [unrolled: 1-line block ×3, first 2 shown]
	v_sub_f32_e32 v54, v59, v61
	v_sub_f32_e32 v59, v60, v62
	;; [unrolled: 1-line block ×3, first 2 shown]
	s_waitcnt lgkmcnt(0)
	s_barrier
	buffer_gl0_inv
	ds_write2_b32 v41, v55, v56 offset1:10
	ds_write2_b32 v41, v57, v58 offset0:20 offset1:30
	ds_write2_b32 v41, v37, v33 offset0:40 offset1:50
	ds_write2_b32 v40, v44, v47 offset1:10
	ds_write2_b32 v40, v49, v54 offset0:20 offset1:30
	ds_write2_b32 v40, v59, v9 offset0:40 offset1:50
	s_and_saveexec_b32 s1, s0
	s_cbranch_execz .LBB0_27
; %bb.26:
	v_add_f32_e32 v9, v46, v42
	v_add_f32_e32 v33, v7, v46
	v_sub_f32_e32 v8, v8, v48
	v_add_f32_e32 v37, v43, v45
	v_mov_b32_e32 v41, 2
	v_fmac_f32_e32 v7, -0.5, v9
	v_mul_f32_e32 v9, 0xbf5db3d7, v53
	v_mul_f32_e32 v40, -0.5, v52
	v_add_f32_e32 v33, v33, v42
	v_fmamk_f32 v42, v8, 0xbf5db3d7, v7
	v_fmamk_f32 v7, v8, 0x3f5db3d7, v7
	v_add_f32_e32 v8, v37, v39
	v_fmac_f32_e32 v9, 0.5, v51
	v_lshlrev_b32_sdwa v37, v41, v38 dst_sel:DWORD dst_unused:UNUSED_PAD src0_sel:DWORD src1_sel:WORD_0
	v_fmac_f32_e32 v40, 0xbf5db3d7, v50
	v_add_f32_e32 v38, v33, v8
	v_add_f32_e32 v39, v42, v9
	v_sub_f32_e32 v8, v33, v8
	v_add3_u32 v33, v36, v37, v4
	v_add_f32_e32 v41, v7, v40
	v_sub_f32_e32 v9, v42, v9
	v_sub_f32_e32 v7, v7, v40
	ds_write2_b32 v33, v38, v39 offset1:10
	ds_write2_b32 v33, v41, v8 offset0:20 offset1:30
	ds_write2_b32 v33, v9, v7 offset0:40 offset1:50
.LBB0_27:
	s_or_b32 exec_lo, exec_lo, s1
	v_subrev_nc_u32_e32 v7, 60, v3
	v_cmp_gt_u32_e64 s0, 60, v3
	v_mov_b32_e32 v8, 0
	s_waitcnt lgkmcnt(0)
	s_barrier
	buffer_gl0_inv
	v_cndmask_b32_e64 v9, v7, v3, s0
	v_mul_i32_i24_e32 v7, 15, v9
	v_lshlrev_b64 v[36:37], 3, v[7:8]
	v_add_co_u32 v64, s0, s12, v36
	v_add_co_ci_u32_e64 v65, s0, s13, v37, s0
	v_cmp_lt_u32_e64 s0, 59, v3
	s_clause 0x7
	global_load_dwordx4 v[36:39], v[64:65], off offset:400
	global_load_dwordx4 v[40:43], v[64:65], off offset:416
	;; [unrolled: 1-line block ×7, first 2 shown]
	global_load_dwordx2 v[64:65], v[64:65], off offset:512
	ds_read_b32 v7, v0 offset:480
	ds_read2_b32 v[66:67], v26 offset0:112 offset1:232
	ds_read_b32 v33, v31
	ds_read2_b32 v[68:69], v27 offset0:96 offset1:216
	v_cndmask_b32_e64 v76, 0, 0x3c0, s0
	ds_read2_b32 v[70:71], v28 offset0:80 offset1:200
	ds_read2_b32 v[72:73], v25 offset0:64 offset1:184
	;; [unrolled: 1-line block ×3, first 2 shown]
	v_or_b32_e32 v9, v76, v9
	v_lshlrev_b32_e32 v9, 2, v9
	v_add3_u32 v4, 0, v9, v4
	s_waitcnt vmcnt(7)
	v_mul_f32_e32 v76, v35, v37
	s_waitcnt lgkmcnt(6)
	v_mul_f32_e32 v77, v7, v37
	s_waitcnt lgkmcnt(5)
	v_mul_f32_e32 v37, v66, v39
	v_mul_f32_e32 v39, v22, v39
	s_waitcnt vmcnt(6)
	v_mul_f32_e32 v9, v23, v41
	v_fmac_f32_e32 v76, v7, v36
	v_mul_f32_e32 v7, v67, v41
	v_fma_f32 v77, v35, v36, -v77
	v_fma_f32 v22, v22, v38, -v37
	v_fmac_f32_e32 v39, v66, v38
	ds_read2_b32 v[35:36], v30 offset0:32 offset1:152
	v_fma_f32 v7, v23, v40, -v7
	s_waitcnt lgkmcnt(4)
	v_mul_f32_e32 v23, v68, v43
	ds_read2_b32 v[37:38], v32 offset0:16 offset1:136
	v_mul_f32_e32 v41, v20, v43
	s_waitcnt vmcnt(5)
	v_mul_f32_e32 v43, v69, v45
	v_fmac_f32_e32 v9, v67, v40
	v_fma_f32 v20, v20, v42, -v23
	v_mul_f32_e32 v23, v21, v45
	s_waitcnt lgkmcnt(4)
	v_mul_f32_e32 v67, v70, v47
	v_fma_f32 v21, v21, v44, -v43
	v_fmac_f32_e32 v41, v68, v42
	v_add_nc_u32_e32 v42, 0x400, v4
	v_fmac_f32_e32 v23, v69, v44
	v_mul_f32_e32 v44, v18, v47
	v_fma_f32 v18, v18, v46, -v67
	s_waitcnt vmcnt(4) lgkmcnt(3)
	v_mul_f32_e32 v67, v72, v51
	v_mul_f32_e32 v51, v16, v51
	v_add_nc_u32_e32 v47, 0xc00, v4
	v_fmac_f32_e32 v44, v70, v46
	v_mul_f32_e32 v46, v71, v49
	v_mul_f32_e32 v49, v19, v49
	v_fma_f32 v16, v16, v50, -v67
	v_fmac_f32_e32 v51, v72, v50
	s_waitcnt vmcnt(2) lgkmcnt(2)
	v_mul_f32_e32 v50, v75, v57
	v_fma_f32 v19, v19, v48, -v46
	v_mul_f32_e32 v46, v73, v53
	v_mul_f32_e32 v53, v17, v53
	v_fmac_f32_e32 v49, v71, v48
	v_mul_f32_e32 v48, v74, v55
	v_mul_f32_e32 v55, v14, v55
	s_waitcnt lgkmcnt(1)
	v_mul_f32_e32 v67, v35, v59
	v_mul_f32_e32 v59, v12, v59
	v_fma_f32 v17, v17, v52, -v46
	s_waitcnt vmcnt(1)
	v_mul_f32_e32 v46, v36, v61
	v_mul_f32_e32 v61, v13, v61
	v_fmac_f32_e32 v53, v73, v52
	s_waitcnt lgkmcnt(0)
	v_mul_f32_e32 v52, v37, v63
	v_mul_f32_e32 v63, v10, v63
	v_fma_f32 v14, v14, v54, -v48
	v_fmac_f32_e32 v55, v74, v54
	s_waitcnt vmcnt(0)
	v_mul_f32_e32 v48, v38, v65
	v_mul_f32_e32 v54, v11, v65
	v_mul_f32_e32 v57, v15, v57
	v_fma_f32 v15, v15, v56, -v50
	v_fma_f32 v12, v12, v58, -v67
	v_fmac_f32_e32 v59, v35, v58
	v_fma_f32 v13, v13, v60, -v46
	v_fmac_f32_e32 v61, v36, v60
	;; [unrolled: 2-line block ×4, first 2 shown]
	v_fmac_f32_e32 v57, v75, v56
	v_sub_f32_e32 v16, v34, v16
	v_sub_f32_e32 v35, v33, v51
	;; [unrolled: 1-line block ×16, first 2 shown]
	v_fma_f32 v34, v34, 2.0, -v16
	v_fma_f32 v20, v20, 2.0, -v12
	;; [unrolled: 1-line block ×12, first 2 shown]
	v_sub_f32_e32 v36, v16, v36
	v_sub_f32_e32 v38, v14, v38
	v_sub_f32_e32 v48, v17, v48
	v_sub_f32_e32 v51, v15, v51
	v_fma_f32 v39, v39, 2.0, -v37
	v_fma_f32 v53, v76, 2.0, -v46
	;; [unrolled: 1-line block ×3, first 2 shown]
	v_add_f32_e32 v12, v35, v12
	v_add_f32_e32 v10, v37, v10
	v_fma_f32 v33, v33, 2.0, -v35
	v_add_f32_e32 v13, v46, v13
	v_add_f32_e32 v11, v50, v11
	v_sub_f32_e32 v20, v34, v20
	v_fma_f32 v16, v16, 2.0, -v36
	v_sub_f32_e32 v18, v22, v18
	v_fma_f32 v14, v14, 2.0, -v38
	;; [unrolled: 2-line block ×4, first 2 shown]
	v_fmamk_f32 v54, v38, 0x3f3504f3, v36
	v_fma_f32 v35, v35, 2.0, -v12
	v_sub_f32_e32 v44, v39, v44
	v_fma_f32 v37, v37, 2.0, -v10
	v_sub_f32_e32 v23, v53, v23
	v_sub_f32_e32 v49, v9, v49
	v_fmamk_f32 v55, v10, 0x3f3504f3, v12
	v_fmamk_f32 v56, v51, 0x3f3504f3, v48
	v_sub_f32_e32 v41, v33, v41
	v_fma_f32 v46, v46, 2.0, -v13
	v_fma_f32 v50, v50, 2.0, -v11
	;; [unrolled: 1-line block ×6, first 2 shown]
	v_fmamk_f32 v58, v14, 0xbf3504f3, v16
	v_fmac_f32_e32 v54, 0xbf3504f3, v10
	v_fmamk_f32 v10, v15, 0xbf3504f3, v17
	v_fmamk_f32 v57, v11, 0x3f3504f3, v13
	v_fma_f32 v39, v39, 2.0, -v44
	v_fma_f32 v53, v53, 2.0, -v23
	;; [unrolled: 1-line block ×3, first 2 shown]
	v_fmamk_f32 v59, v37, 0xbf3504f3, v35
	v_sub_f32_e32 v44, v20, v44
	v_fmac_f32_e32 v55, 0x3f3504f3, v38
	v_sub_f32_e32 v38, v21, v49
	v_fmac_f32_e32 v56, 0xbf3504f3, v11
	v_fma_f32 v33, v33, 2.0, -v41
	v_add_f32_e32 v60, v41, v18
	v_fmamk_f32 v18, v50, 0xbf3504f3, v46
	v_add_f32_e32 v19, v23, v19
	v_sub_f32_e32 v11, v34, v22
	v_fmac_f32_e32 v58, 0xbf3504f3, v37
	v_sub_f32_e32 v7, v52, v7
	v_fmac_f32_e32 v10, 0xbf3504f3, v50
	v_fmac_f32_e32 v57, 0x3f3504f3, v51
	v_fmac_f32_e32 v59, 0x3f3504f3, v14
	v_fma_f32 v14, v20, 2.0, -v44
	v_fma_f32 v22, v36, 2.0, -v54
	;; [unrolled: 1-line block ×3, first 2 shown]
	v_sub_f32_e32 v9, v53, v9
	v_fma_f32 v12, v21, 2.0, -v38
	v_fma_f32 v21, v48, 2.0, -v56
	v_sub_f32_e32 v39, v33, v39
	v_fmac_f32_e32 v18, 0x3f3504f3, v15
	v_fma_f32 v20, v41, 2.0, -v60
	v_fma_f32 v15, v23, 2.0, -v19
	v_fmamk_f32 v23, v38, 0x3f3504f3, v44
	v_fmamk_f32 v41, v56, 0x3f6c835e, v54
	v_fma_f32 v34, v34, 2.0, -v11
	v_fma_f32 v16, v16, 2.0, -v58
	;; [unrolled: 1-line block ×6, first 2 shown]
	v_fmamk_f32 v51, v12, 0xbf3504f3, v14
	v_fmamk_f32 v53, v21, 0xbec3ef15, v22
	;; [unrolled: 1-line block ×3, first 2 shown]
	v_fma_f32 v33, v33, 2.0, -v39
	v_fma_f32 v35, v35, 2.0, -v59
	;; [unrolled: 1-line block ×3, first 2 shown]
	v_fmamk_f32 v62, v10, 0x3ec3ef15, v58
	v_fmamk_f32 v52, v15, 0xbf3504f3, v20
	;; [unrolled: 1-line block ×3, first 2 shown]
	v_fmac_f32_e32 v23, 0xbf3504f3, v19
	v_fmac_f32_e32 v41, 0xbec3ef15, v57
	v_sub_f32_e32 v19, v34, v49
	v_fmamk_f32 v49, v17, 0xbf6c835e, v16
	v_fmac_f32_e32 v51, 0xbf3504f3, v15
	v_fmac_f32_e32 v53, 0xbf6c835e, v13
	v_sub_f32_e32 v9, v11, v9
	v_fmac_f32_e32 v37, 0x3f3504f3, v38
	v_sub_f32_e32 v38, v33, v50
	v_fmamk_f32 v50, v46, 0xbf6c835e, v35
	v_fmac_f32_e32 v62, 0xbf6c835e, v18
	v_fmac_f32_e32 v52, 0x3f3504f3, v12
	;; [unrolled: 1-line block ×3, first 2 shown]
	v_fma_f32 v10, v44, 2.0, -v23
	v_fma_f32 v12, v54, 2.0, -v41
	v_fmac_f32_e32 v49, 0xbec3ef15, v46
	v_add_nc_u32_e32 v45, 0x800, v4
	v_add_nc_u32_e32 v43, 0xa00, v4
	v_fmamk_f32 v61, v13, 0xbec3ef15, v36
	v_fma_f32 v14, v14, 2.0, -v51
	v_fma_f32 v15, v22, 2.0, -v53
	v_add_nc_u32_e32 v40, 0x200, v4
	v_fma_f32 v11, v11, 2.0, -v9
	v_fmac_f32_e32 v50, 0x3ec3ef15, v17
	v_fma_f32 v17, v58, 2.0, -v62
	v_add_nc_u32_e32 v66, 0x600, v4
	s_barrier
	buffer_gl0_inv
	ds_write2_b32 v47, v23, v41 offset0:72 offset1:132
	v_fma_f32 v13, v34, 2.0, -v19
	ds_write2_b32 v42, v10, v12 offset0:104 offset1:164
	ds_write2_b32 v45, v51, v53 offset0:88 offset1:148
	ds_write2_b32 v43, v9, v62 offset0:80 offset1:140
	v_fma_f32 v9, v16, 2.0, -v49
	v_fmac_f32_e32 v61, 0x3f6c835e, v21
	v_fma_f32 v34, v20, 2.0, -v52
	ds_write2_b32 v4, v14, v15 offset0:120 offset1:180
	ds_write2_b32 v40, v11, v17 offset0:112 offset1:172
	;; [unrolled: 1-line block ×3, first 2 shown]
	ds_write2_b32 v4, v13, v9 offset1:60
	s_waitcnt lgkmcnt(0)
	s_barrier
	buffer_gl0_inv
	ds_read2_b32 v[15:16], v25 offset0:64 offset1:184
	ds_read_b32 v25, v31
	ds_read_b32 v23, v0 offset:480
	ds_read2_b32 v[9:10], v26 offset0:112 offset1:232
	ds_read2_b32 v[17:18], v29 offset0:48 offset1:168
	;; [unrolled: 1-line block ×6, first 2 shown]
	v_fmamk_f32 v48, v57, 0x3f6c835e, v55
	v_add_f32_e32 v7, v39, v7
	v_fma_f32 v33, v33, 2.0, -v38
	v_fma_f32 v35, v35, 2.0, -v50
	;; [unrolled: 1-line block ×3, first 2 shown]
	v_fmac_f32_e32 v48, 0x3ec3ef15, v56
	v_fma_f32 v27, v39, 2.0, -v7
	v_fma_f32 v28, v59, 2.0, -v63
	;; [unrolled: 1-line block ×3, first 2 shown]
	s_waitcnt lgkmcnt(0)
	v_fma_f32 v30, v55, 2.0, -v48
	s_barrier
	buffer_gl0_inv
	ds_write2_b32 v4, v33, v35 offset1:60
	ds_write2_b32 v4, v34, v26 offset0:120 offset1:180
	ds_write2_b32 v40, v27, v28 offset0:112 offset1:172
	;; [unrolled: 1-line block ×7, first 2 shown]
	s_waitcnt lgkmcnt(0)
	s_barrier
	buffer_gl0_inv
	s_and_saveexec_b32 s0, vcc_lo
	s_cbranch_execz .LBB0_29
; %bb.28:
	v_add_nc_u32_e32 v7, 0x348, v3
	v_add_nc_u32_e32 v29, 0x2d0, v3
	v_mov_b32_e32 v30, v8
	v_add_nc_u32_e32 v28, 0x258, v3
	v_add_nc_u32_e32 v35, 0x1e0, v3
	v_lshlrev_b64 v[26:27], 3, v[7:8]
	v_mov_b32_e32 v36, v8
	v_add_nc_u32_e32 v34, 0x168, v3
	v_add_nc_u32_e32 v43, 0xf0, v3
	;; [unrolled: 1-line block ×3, first 2 shown]
	v_mul_lo_u32 v6, s4, v6
	v_add_co_u32 v4, vcc_lo, s12, v26
	v_add_co_ci_u32_e32 v7, vcc_lo, s13, v27, vcc_lo
	v_lshlrev_b64 v[26:27], 3, v[29:30]
	v_add_co_u32 v32, vcc_lo, 0x1800, v4
	v_mov_b32_e32 v29, v8
	v_add_co_ci_u32_e32 v33, vcc_lo, 0, v7, vcc_lo
	v_add_co_u32 v4, vcc_lo, s12, v26
	v_add_co_ci_u32_e32 v7, vcc_lo, s13, v27, vcc_lo
	v_lshlrev_b64 v[28:29], 3, v[28:29]
	v_add_co_u32 v26, vcc_lo, 0x1800, v4
	v_add_co_ci_u32_e32 v27, vcc_lo, 0, v7, vcc_lo
	s_clause 0x1
	global_load_dwordx2 v[32:33], v[32:33], off offset:1456
	global_load_dwordx2 v[26:27], v[26:27], off offset:1456
	v_add_co_u32 v4, vcc_lo, s12, v28
	v_add_co_ci_u32_e32 v7, vcc_lo, s13, v29, vcc_lo
	v_lshlrev_b64 v[28:29], 3, v[35:36]
	v_add_co_u32 v36, vcc_lo, 0x1800, v4
	v_add_co_ci_u32_e32 v37, vcc_lo, 0, v7, vcc_lo
	v_mov_b32_e32 v35, v8
	v_add_co_u32 v4, vcc_lo, s12, v28
	v_add_co_ci_u32_e32 v7, vcc_lo, s13, v29, vcc_lo
	v_mul_hi_u32 v48, 0x88888889, v43
	v_add_co_u32 v28, vcc_lo, 0x1800, v4
	v_mov_b32_e32 v4, v8
	v_add_co_ci_u32_e32 v29, vcc_lo, 0, v7, vcc_lo
	v_lshlrev_b64 v[7:8], 3, v[34:35]
	s_clause 0x1
	global_load_dwordx2 v[34:35], v[36:37], off offset:1456
	global_load_dwordx2 v[28:29], v[28:29], off offset:1456
	v_lshlrev_b64 v[36:37], 3, v[3:4]
	v_add_nc_u32_e32 v45, 0x1e0, v3
	v_mul_hi_u32 v47, 0x88888889, v42
	v_add_co_u32 v4, vcc_lo, s12, v7
	v_add_co_ci_u32_e32 v8, vcc_lo, s13, v8, vcc_lo
	v_add_co_u32 v30, vcc_lo, s12, v36
	v_add_co_ci_u32_e32 v41, vcc_lo, s13, v37, vcc_lo
	;; [unrolled: 2-line block ×4, first 2 shown]
	s_clause 0x1
	global_load_dwordx2 v[7:8], v[7:8], off offset:1456
	global_load_dwordx2 v[38:39], v[36:37], off offset:1328
	v_add_co_u32 v40, vcc_lo, 0x1800, v30
	v_add_co_ci_u32_e32 v41, vcc_lo, 0, v41, vcc_lo
	s_clause 0x1
	global_load_dwordx2 v[40:41], v[40:41], off offset:1456
	global_load_dwordx2 v[36:37], v[36:37], off offset:368
	v_mul_lo_u32 v30, s5, v5
	v_mad_u64_u32 v[4:5], null, s4, v5, 0
	v_add_nc_u32_e32 v44, 0x168, v3
	v_add_nc_u32_e32 v46, 0x258, v3
	;; [unrolled: 1-line block ×8, first 2 shown]
	v_mul_hi_u32 v24, 0x88888889, v3
	v_add3_u32 v5, v5, v6, v30
	v_mul_hi_u32 v6, 0x88888889, v45
	v_lshrrev_b32_e32 v48, 9, v48
	v_lshrrev_b32_e32 v47, 9, v47
	v_mul_hi_u32 v49, 0x88888889, v44
	v_mul_hi_u32 v30, 0x88888889, v46
	v_lshlrev_b64 v[4:5], 3, v[4:5]
	v_mul_u32_u24_e32 v51, 0x3c0, v48
	v_lshrrev_b32_e32 v24, 9, v24
	v_lshrrev_b32_e32 v6, 9, v6
	v_mul_u32_u24_e32 v50, 0x3c0, v47
	v_lshlrev_b64 v[1:2], 3, v[1:2]
	v_lshrrev_b32_e32 v49, 9, v49
	v_lshrrev_b32_e32 v30, 9, v30
	v_sub_nc_u32_e32 v43, v43, v51
	v_mul_u32_u24_e32 v24, 0x3c0, v24
	v_mul_u32_u24_e32 v53, 0x3c0, v6
	v_add_co_u32 v55, vcc_lo, s10, v4
	v_sub_nc_u32_e32 v42, v42, v50
	v_mul_u32_u24_e32 v52, 0x3c0, v49
	v_mul_u32_u24_e32 v54, 0x3c0, v30
	v_add_co_ci_u32_e32 v5, vcc_lo, s11, v5, vcc_lo
	v_mad_u32_u24 v57, 0x780, v48, v43
	v_sub_nc_u32_e32 v24, v3, v24
	v_sub_nc_u32_e32 v45, v45, v53
	v_add_co_u32 v71, vcc_lo, v55, v1
	v_mad_u32_u24 v55, 0x780, v47, v42
	v_sub_nc_u32_e32 v44, v44, v52
	v_sub_nc_u32_e32 v46, v46, v54
	v_add_nc_u32_e32 v58, 0x3c0, v57
	v_add_nc_u32_e32 v69, 0x2d0, v3
	;; [unrolled: 1-line block ×3, first 2 shown]
	v_mad_u64_u32 v[3:4], null, s2, v24, 0
	v_add_co_ci_u32_e32 v72, vcc_lo, v5, v2, vcc_lo
	v_mad_u32_u24 v62, 0x780, v6, v45
	v_mad_u64_u32 v[5:6], null, s2, v55, 0
	v_add_nc_u32_e32 v56, 0x3c0, v24
	v_mad_u32_u24 v61, 0x780, v49, v44
	v_mad_u32_u24 v73, 0x780, v30, v46
	v_add_nc_u32_e32 v30, 0x3c0, v55
	v_mad_u64_u32 v[51:52], null, s2, v58, 0
	v_mad_u64_u32 v[1:2], null, s2, v56, 0
	;; [unrolled: 1-line block ×6, first 2 shown]
	v_mov_b32_e32 v24, v52
	v_mad_u64_u32 v[53:54], null, s3, v56, v[2:3]
	v_mov_b32_e32 v2, v43
	ds_read_b32 v74, v0 offset:480
	ds_read_b32 v75, v31
	v_mad_u64_u32 v[58:59], null, s3, v58, v[24:25]
	v_mov_b32_e32 v24, v45
	v_mad_u64_u32 v[46:47], null, s2, v62, 0
	v_add_nc_u32_e32 v59, 0x3c0, v61
	v_add_nc_u32_e32 v68, 0xe00, v0
	v_mov_b32_e32 v4, v48
	v_mov_b32_e32 v0, v47
	v_mad_u64_u32 v[47:48], null, s3, v62, v[0:1]
	v_add_nc_u32_e32 v48, 0x3c0, v62
	v_lshlrev_b64 v[46:47], 3, v[46:47]
	s_waitcnt vmcnt(7)
	v_mul_f32_e32 v77, v22, v33
	s_waitcnt vmcnt(6)
	v_mul_f32_e32 v79, v21, v27
	s_waitcnt vmcnt(3)
	v_mad_u64_u32 v[54:55], null, s3, v55, v[6:7]
	v_mov_b32_e32 v6, v50
	v_mad_u64_u32 v[55:56], null, s3, v57, v[2:3]
	v_mov_b32_e32 v2, v53
	v_mad_u64_u32 v[56:57], null, s2, v73, 0
	v_mad_u64_u32 v[52:53], null, s3, v30, v[6:7]
	;; [unrolled: 1-line block ×3, first 2 shown]
	v_lshlrev_b64 v[3:4], 3, v[3:4]
	v_mov_b32_e32 v6, v54
	v_mov_b32_e32 v24, v57
	v_mov_b32_e32 v43, v55
	v_mov_b32_e32 v50, v52
	v_mov_b32_e32 v52, v58
	v_mov_b32_e32 v45, v30
	v_mad_u64_u32 v[30:31], null, s2, v59, 0
	v_mad_u64_u32 v[53:54], null, s3, v73, v[24:25]
	;; [unrolled: 1-line block ×3, first 2 shown]
	v_add_co_u32 v3, vcc_lo, v71, v3
	v_mov_b32_e32 v0, v31
	v_lshlrev_b64 v[5:6], 3, v[5:6]
	v_add_co_ci_u32_e32 v4, vcc_lo, v72, v4, vcc_lo
	v_lshlrev_b64 v[42:43], 3, v[42:43]
	v_mad_u64_u32 v[58:59], null, s3, v59, v[0:1]
	v_lshlrev_b64 v[0:1], 3, v[1:2]
	ds_read2_b32 v[59:60], v60 offset0:16 offset1:136
	v_mov_b32_e32 v57, v53
	v_mul_hi_u32 v53, 0x88888889, v69
	v_mul_hi_u32 v31, 0x88888889, v70
	v_lshlrev_b64 v[44:45], 3, v[44:45]
	v_add_co_u32 v0, vcc_lo, v71, v0
	v_add_co_ci_u32_e32 v1, vcc_lo, v72, v1, vcc_lo
	v_add_co_u32 v5, vcc_lo, v71, v5
	v_mov_b32_e32 v24, v55
	v_add_co_ci_u32_e32 v6, vcc_lo, v72, v6, vcc_lo
	v_add_co_u32 v42, vcc_lo, v71, v42
	v_add_co_ci_u32_e32 v43, vcc_lo, v72, v43, vcc_lo
	v_lshlrev_b64 v[56:57], 3, v[56:57]
	v_add_co_u32 v44, vcc_lo, v71, v44
	v_mad_u64_u32 v[61:62], null, s3, v48, v[24:25]
	v_lshrrev_b32_e32 v24, 9, v53
	v_lshrrev_b32_e32 v76, 9, v31
	v_add_co_ci_u32_e32 v45, vcc_lo, v72, v45, vcc_lo
	v_add_co_u32 v46, vcc_lo, v71, v46
	v_add_co_ci_u32_e32 v47, vcc_lo, v72, v47, vcc_lo
	ds_read2_b32 v[62:63], v63 offset0:32 offset1:152
	v_mov_b32_e32 v31, v58
	v_lshlrev_b64 v[48:49], 3, v[49:50]
	v_lshlrev_b64 v[50:51], 3, v[51:52]
	v_add_co_u32 v52, vcc_lo, v71, v56
	s_waitcnt lgkmcnt(1)
	v_mul_f32_e32 v2, v60, v33
	v_mul_u32_u24_e32 v56, 0x3c0, v24
	v_mul_u32_u24_e32 v58, 0x3c0, v76
	v_fmac_f32_e32 v79, v59, v26
	v_add_co_ci_u32_e32 v53, vcc_lo, v72, v57, vcc_lo
	v_fma_f32 v78, v22, v32, -v2
	v_sub_nc_u32_e32 v2, v69, v56
	v_sub_nc_u32_e32 v69, v70, v58
	v_mul_f32_e32 v22, v59, v27
	ds_read2_b32 v[58:59], v67 offset0:48 offset1:168
	v_fmac_f32_e32 v77, v60, v32
	ds_read2_b32 v[32:33], v64 offset0:80 offset1:200
	ds_read2_b32 v[56:57], v65 offset0:96 offset1:216
	;; [unrolled: 1-line block ×3, first 2 shown]
	v_mov_b32_e32 v55, v61
	ds_read2_b32 v[60:61], v66 offset0:112 offset1:232
	v_mad_u32_u24 v66, 0x780, v24, v2
	v_mul_f32_e32 v68, v20, v35
	s_waitcnt lgkmcnt(5)
	v_mul_f32_e32 v2, v63, v35
	v_mul_f32_e32 v70, v19, v29
	v_mul_f32_e32 v29, v62, v29
	v_add_co_u32 v48, vcc_lo, v71, v48
	v_fmac_f32_e32 v68, v63, v34
	v_fma_f32 v34, v20, v34, -v2
	v_lshlrev_b64 v[30:31], 3, v[30:31]
	v_add_co_ci_u32_e32 v49, vcc_lo, v72, v49, vcc_lo
	v_add_co_u32 v50, vcc_lo, v71, v50
	s_waitcnt lgkmcnt(4)
	v_mul_f32_e32 v2, v59, v8
	v_fmac_f32_e32 v70, v62, v28
	v_fma_f32 v63, v19, v28, -v29
	v_lshlrev_b64 v[28:29], 3, v[54:55]
	v_mul_f32_e32 v62, v18, v8
	s_waitcnt vmcnt(2)
	v_mul_f32_e32 v80, v17, v39
	v_fma_f32 v54, v18, v7, -v2
	v_mul_f32_e32 v2, v58, v39
	v_add_co_ci_u32_e32 v51, vcc_lo, v72, v51, vcc_lo
	v_fma_f32 v24, v21, v26, -v22
	v_add_co_u32 v21, vcc_lo, v71, v30
	v_add_co_ci_u32_e32 v22, vcc_lo, v72, v31, vcc_lo
	v_fmac_f32_e32 v62, v59, v7
	v_fmac_f32_e32 v80, v58, v38
	v_fma_f32 v58, v17, v38, -v2
	v_add_co_u32 v17, vcc_lo, v71, v28
	s_waitcnt vmcnt(1)
	v_mul_f32_e32 v59, v15, v41
	s_waitcnt lgkmcnt(1)
	v_mul_f32_e32 v28, v64, v41
	v_add_nc_u32_e32 v67, 0x3c0, v73
	s_waitcnt vmcnt(0)
	v_mul_f32_e32 v55, v16, v37
	v_mul_f32_e32 v2, v65, v37
	v_fmac_f32_e32 v59, v64, v40
	v_fma_f32 v15, v15, v40, -v28
	v_mad_u64_u32 v[19:20], null, s2, v67, 0
	v_fmac_f32_e32 v55, v65, v36
	v_fma_f32 v65, v16, v36, -v2
	v_add_co_ci_u32_e32 v18, vcc_lo, v72, v29, vcc_lo
	v_sub_f32_e32 v29, v33, v77
	v_sub_f32_e32 v31, v32, v79
	;; [unrolled: 1-line block ×6, first 2 shown]
	s_waitcnt lgkmcnt(0)
	v_sub_f32_e32 v39, v61, v62
	v_sub_f32_e32 v40, v9, v58
	;; [unrolled: 1-line block ×4, first 2 shown]
	v_mad_u64_u32 v[26:27], null, s2, v66, 0
	v_sub_f32_e32 v38, v10, v54
	v_sub_f32_e32 v55, v74, v55
	;; [unrolled: 1-line block ×4, first 2 shown]
	v_mov_b32_e32 v16, v20
	v_fma_f32 v15, v33, 2.0, -v29
	v_fma_f32 v33, v32, 2.0, -v31
	v_fma_f32 v32, v13, 2.0, -v30
	v_fma_f32 v13, v57, 2.0, -v35
	v_fma_f32 v57, v56, 2.0, -v37
	v_fma_f32 v56, v11, 2.0, -v36
	v_fma_f32 v11, v61, 2.0, -v39
	v_fma_f32 v62, v75, 2.0, -v59
	v_fma_f32 v61, v25, 2.0, -v58
	v_fma_f32 v24, v74, 2.0, -v55
	v_fma_f32 v23, v23, 2.0, -v54
	v_add_nc_u32_e32 v73, 0x3c0, v66
	v_fma_f32 v64, v60, 2.0, -v41
	v_fma_f32 v63, v9, 2.0, -v40
	v_mov_b32_e32 v2, v27
	v_fma_f32 v10, v10, 2.0, -v38
	global_store_dwordx2 v[3:4], v[61:62], off
	global_store_dwordx2 v[0:1], v[58:59], off
	;; [unrolled: 1-line block ×10, first 2 shown]
	v_mad_u64_u32 v[0:1], null, s3, v67, v[16:17]
	v_mad_u32_u24 v16, 0x780, v76, v69
	v_mad_u64_u32 v[7:8], null, s2, v73, 0
	v_mad_u64_u32 v[1:2], null, s3, v66, v[2:3]
	;; [unrolled: 1-line block ×3, first 2 shown]
	v_add_nc_u32_e32 v17, 0x3c0, v16
	v_sub_f32_e32 v34, v12, v34
	v_mov_b32_e32 v2, v8
	v_mov_b32_e32 v20, v0
	;; [unrolled: 1-line block ×3, first 2 shown]
	v_mad_u64_u32 v[9:10], null, s2, v17, 0
	v_mov_b32_e32 v0, v4
	v_fma_f32 v12, v12, 2.0, -v34
	v_mad_u64_u32 v[5:6], null, s3, v73, v[2:3]
	v_sub_f32_e32 v28, v14, v78
	v_mad_u64_u32 v[0:1], null, s3, v16, v[0:1]
	v_mov_b32_e32 v1, v10
	global_store_dwordx2 v[52:53], v[12:13], off
	v_lshlrev_b64 v[11:12], 3, v[19:20]
	v_mov_b32_e32 v8, v5
	v_fma_f32 v14, v14, 2.0, -v28
	v_mad_u64_u32 v[1:2], null, s3, v17, v[1:2]
	v_mov_b32_e32 v4, v0
	v_add_co_u32 v5, vcc_lo, v71, v11
	v_lshlrev_b64 v[10:11], 3, v[26:27]
	v_lshlrev_b64 v[7:8], 3, v[7:8]
	v_add_co_ci_u32_e32 v6, vcc_lo, v72, v12, vcc_lo
	v_lshlrev_b64 v[2:3], 3, v[3:4]
	v_add_co_u32 v12, vcc_lo, v71, v10
	v_mov_b32_e32 v10, v1
	v_add_co_ci_u32_e32 v13, vcc_lo, v72, v11, vcc_lo
	v_add_co_u32 v0, vcc_lo, v71, v7
	v_add_co_ci_u32_e32 v1, vcc_lo, v72, v8, vcc_lo
	v_lshlrev_b64 v[7:8], 3, v[9:10]
	v_add_co_u32 v2, vcc_lo, v71, v2
	v_add_co_ci_u32_e32 v3, vcc_lo, v72, v3, vcc_lo
	v_add_co_u32 v7, vcc_lo, v71, v7
	v_add_co_ci_u32_e32 v8, vcc_lo, v72, v8, vcc_lo
	global_store_dwordx2 v[5:6], v[34:35], off
	global_store_dwordx2 v[12:13], v[32:33], off
	;; [unrolled: 1-line block ×5, first 2 shown]
.LBB0_29:
	s_endpgm
	.section	.rodata,"a",@progbits
	.p2align	6, 0x0
	.amdhsa_kernel fft_rtc_fwd_len1920_factors_10_6_16_2_wgs_240_tpt_120_halfLds_sp_op_CI_CI_sbrr_dirReg
		.amdhsa_group_segment_fixed_size 0
		.amdhsa_private_segment_fixed_size 0
		.amdhsa_kernarg_size 104
		.amdhsa_user_sgpr_count 6
		.amdhsa_user_sgpr_private_segment_buffer 1
		.amdhsa_user_sgpr_dispatch_ptr 0
		.amdhsa_user_sgpr_queue_ptr 0
		.amdhsa_user_sgpr_kernarg_segment_ptr 1
		.amdhsa_user_sgpr_dispatch_id 0
		.amdhsa_user_sgpr_flat_scratch_init 0
		.amdhsa_user_sgpr_private_segment_size 0
		.amdhsa_wavefront_size32 1
		.amdhsa_uses_dynamic_stack 0
		.amdhsa_system_sgpr_private_segment_wavefront_offset 0
		.amdhsa_system_sgpr_workgroup_id_x 1
		.amdhsa_system_sgpr_workgroup_id_y 0
		.amdhsa_system_sgpr_workgroup_id_z 0
		.amdhsa_system_sgpr_workgroup_info 0
		.amdhsa_system_vgpr_workitem_id 0
		.amdhsa_next_free_vgpr 85
		.amdhsa_next_free_sgpr 31
		.amdhsa_reserve_vcc 1
		.amdhsa_reserve_flat_scratch 0
		.amdhsa_float_round_mode_32 0
		.amdhsa_float_round_mode_16_64 0
		.amdhsa_float_denorm_mode_32 3
		.amdhsa_float_denorm_mode_16_64 3
		.amdhsa_dx10_clamp 1
		.amdhsa_ieee_mode 1
		.amdhsa_fp16_overflow 0
		.amdhsa_workgroup_processor_mode 1
		.amdhsa_memory_ordered 1
		.amdhsa_forward_progress 0
		.amdhsa_shared_vgpr_count 0
		.amdhsa_exception_fp_ieee_invalid_op 0
		.amdhsa_exception_fp_denorm_src 0
		.amdhsa_exception_fp_ieee_div_zero 0
		.amdhsa_exception_fp_ieee_overflow 0
		.amdhsa_exception_fp_ieee_underflow 0
		.amdhsa_exception_fp_ieee_inexact 0
		.amdhsa_exception_int_div_zero 0
	.end_amdhsa_kernel
	.text
.Lfunc_end0:
	.size	fft_rtc_fwd_len1920_factors_10_6_16_2_wgs_240_tpt_120_halfLds_sp_op_CI_CI_sbrr_dirReg, .Lfunc_end0-fft_rtc_fwd_len1920_factors_10_6_16_2_wgs_240_tpt_120_halfLds_sp_op_CI_CI_sbrr_dirReg
                                        ; -- End function
	.section	.AMDGPU.csdata,"",@progbits
; Kernel info:
; codeLenInByte = 10900
; NumSgprs: 33
; NumVgprs: 85
; ScratchSize: 0
; MemoryBound: 0
; FloatMode: 240
; IeeeMode: 1
; LDSByteSize: 0 bytes/workgroup (compile time only)
; SGPRBlocks: 4
; VGPRBlocks: 10
; NumSGPRsForWavesPerEU: 33
; NumVGPRsForWavesPerEU: 85
; Occupancy: 10
; WaveLimiterHint : 1
; COMPUTE_PGM_RSRC2:SCRATCH_EN: 0
; COMPUTE_PGM_RSRC2:USER_SGPR: 6
; COMPUTE_PGM_RSRC2:TRAP_HANDLER: 0
; COMPUTE_PGM_RSRC2:TGID_X_EN: 1
; COMPUTE_PGM_RSRC2:TGID_Y_EN: 0
; COMPUTE_PGM_RSRC2:TGID_Z_EN: 0
; COMPUTE_PGM_RSRC2:TIDIG_COMP_CNT: 0
	.text
	.p2alignl 6, 3214868480
	.fill 48, 4, 3214868480
	.type	__hip_cuid_178c6bd4f5b8e77f,@object ; @__hip_cuid_178c6bd4f5b8e77f
	.section	.bss,"aw",@nobits
	.globl	__hip_cuid_178c6bd4f5b8e77f
__hip_cuid_178c6bd4f5b8e77f:
	.byte	0                               ; 0x0
	.size	__hip_cuid_178c6bd4f5b8e77f, 1

	.ident	"AMD clang version 19.0.0git (https://github.com/RadeonOpenCompute/llvm-project roc-6.4.0 25133 c7fe45cf4b819c5991fe208aaa96edf142730f1d)"
	.section	".note.GNU-stack","",@progbits
	.addrsig
	.addrsig_sym __hip_cuid_178c6bd4f5b8e77f
	.amdgpu_metadata
---
amdhsa.kernels:
  - .args:
      - .actual_access:  read_only
        .address_space:  global
        .offset:         0
        .size:           8
        .value_kind:     global_buffer
      - .offset:         8
        .size:           8
        .value_kind:     by_value
      - .actual_access:  read_only
        .address_space:  global
        .offset:         16
        .size:           8
        .value_kind:     global_buffer
      - .actual_access:  read_only
        .address_space:  global
        .offset:         24
        .size:           8
        .value_kind:     global_buffer
      - .actual_access:  read_only
        .address_space:  global
        .offset:         32
        .size:           8
        .value_kind:     global_buffer
      - .offset:         40
        .size:           8
        .value_kind:     by_value
      - .actual_access:  read_only
        .address_space:  global
        .offset:         48
        .size:           8
        .value_kind:     global_buffer
      - .actual_access:  read_only
        .address_space:  global
        .offset:         56
        .size:           8
        .value_kind:     global_buffer
      - .offset:         64
        .size:           4
        .value_kind:     by_value
      - .actual_access:  read_only
        .address_space:  global
        .offset:         72
        .size:           8
        .value_kind:     global_buffer
      - .actual_access:  read_only
        .address_space:  global
        .offset:         80
        .size:           8
        .value_kind:     global_buffer
      - .actual_access:  read_only
        .address_space:  global
        .offset:         88
        .size:           8
        .value_kind:     global_buffer
      - .actual_access:  write_only
        .address_space:  global
        .offset:         96
        .size:           8
        .value_kind:     global_buffer
    .group_segment_fixed_size: 0
    .kernarg_segment_align: 8
    .kernarg_segment_size: 104
    .language:       OpenCL C
    .language_version:
      - 2
      - 0
    .max_flat_workgroup_size: 240
    .name:           fft_rtc_fwd_len1920_factors_10_6_16_2_wgs_240_tpt_120_halfLds_sp_op_CI_CI_sbrr_dirReg
    .private_segment_fixed_size: 0
    .sgpr_count:     33
    .sgpr_spill_count: 0
    .symbol:         fft_rtc_fwd_len1920_factors_10_6_16_2_wgs_240_tpt_120_halfLds_sp_op_CI_CI_sbrr_dirReg.kd
    .uniform_work_group_size: 1
    .uses_dynamic_stack: false
    .vgpr_count:     85
    .vgpr_spill_count: 0
    .wavefront_size: 32
    .workgroup_processor_mode: 1
amdhsa.target:   amdgcn-amd-amdhsa--gfx1030
amdhsa.version:
  - 1
  - 2
...

	.end_amdgpu_metadata
